;; amdgpu-corpus repo=ROCm/aiter kind=harvested arch=n/a opt=n/a

/root/src/amdgpu-assembly/repos/ROCm__aiter/hsa/gfx942/fmoe_2stages/fmoe_stage1_bf16_pertokenFp8_doweight_g1u1_144x64_pf2.co:	file format elf64-amdgpu

Disassembly of section .text:

0000000000002a00 <_ZN5aiter53fmoe_stage1_bf16_pertokenFp8_doweight_g1u1_144x64_pf2E>:
	s_and_b32 s1, s1, 0xffff                                   // 000000002A00: 8601FF01 0000FFFF
	s_load_dwordx2 s[8:9], s[0:1], 0x0                         // 000000002A08: C0060200 00000000
	s_load_dwordx2 s[20:21], s[0:1], 0x10                      // 000000002A10: C0060500 00000010
	s_load_dwordx2 s[24:25], s[0:1], 0x20                      // 000000002A18: C0060600 00000020
	s_load_dwordx2 s[48:49], s[0:1], 0x30                      // 000000002A20: C0060C00 00000030
	s_load_dwordx2 s[28:29], s[0:1], 0x40                      // 000000002A28: C0060700 00000040
	s_load_dwordx2 s[32:33], s[0:1], 0x50                      // 000000002A30: C0060800 00000050
	s_load_dwordx2 s[36:37], s[0:1], 0x60                      // 000000002A38: C0060900 00000060
	s_load_dwordx2 s[12:13], s[0:1], 0x70                      // 000000002A40: C0060300 00000070
	s_load_dwordx2 s[44:45], s[0:1], 0x80                      // 000000002A48: C0060B00 00000080
	s_mov_b32 s89, 0                                           // 000000002A50: BED90080
	s_load_dword s64, s[0:1], 0x90                             // 000000002A54: C0021000 00000090
	s_load_dword s65, s[0:1], 0xa0                             // 000000002A5C: C0021040 000000A0
	s_load_dword s66, s[0:1], 0xb0                             // 000000002A64: C0021080 000000B0
	s_load_dword s67, s[0:1], 0xc0                             // 000000002A6C: C00210C0 000000C0
	s_load_dword s68, s[0:1], 0xd0                             // 000000002A74: C0021100 000000D0
	s_load_dword s69, s[0:1], 0xe0                             // 000000002A7C: C0021140 000000E0
	s_load_dword s71, s[0:1], 0xf0                             // 000000002A84: C00211C0 000000F0
	s_load_dword s72, s[0:1], 0x100                            // 000000002A8C: C0021200 00000100
	s_load_dword s74, s[0:1], 0x110                            // 000000002A94: C0021280 00000110
	s_load_dword s76, s[0:1], 0x120                            // 000000002A9C: C0021300 00000120
	s_load_dword s56, s[0:1], 0x130                            // 000000002AA4: C0020E00 00000130
	s_load_dword s88, s[0:1], 0x140                            // 000000002AAC: C0021600 00000140
	s_load_dword s89, s[0:1], 0x150                            // 000000002AB4: C0021640 00000150
	s_load_dwordx2 s[40:41], s[0:1], 0x160                     // 000000002ABC: C0060A00 00000160
	v_lshrrev_b32_e32 v1, 10, v0                               // 000000002AC4: 2002008A
	v_lshrrev_b32_e32 v2, 10, v1                               // 000000002AC8: 2004028A
	v_and_b32_e32 v2, 0x3ff, v2                                // 000000002ACC: 260404FF 000003FF
	v_and_b32_e32 v1, 0x3ff, v1                                // 000000002AD4: 260202FF 000003FF
	v_and_b32_e32 v0, 0x3ff, v0                                // 000000002ADC: 260000FF 000003FF
	v_lshrrev_b32_e32 v3, 6, v0                                // 000000002AE4: 20060086
	v_and_b32_e32 v0, 63, v0                                   // 000000002AE8: 260000BF
	s_mov_b32 s2, s2                                           // 000000002AEC: BE820002
	s_mov_b32 s3, s3                                           // 000000002AF0: BE830003
	s_mov_b32 s4, s4                                           // 000000002AF4: BE840004
	v_readfirstlane_b32 s7, v3                                 // 000000002AF8: 7E0E0503
	s_waitcnt lgkmcnt(0)                                       // 000000002AFC: BF8CC07F
	s_and_b32 s49, s49, 0xffff                                 // 000000002B00: 8631FF31 0000FFFF
	s_load_dword s48, s[48:49], 0x0                            // 000000002B08: C0020C18 00000000
	s_and_b32 s45, s45, 0xffff                                 // 000000002B10: 862DFF2D 0000FFFF
	s_and_b32 s9, s9, 0xffff                                   // 000000002B18: 8609FF09 0000FFFF
	s_mul_i32 s60, s66, s68                                    // 000000002B20: 923C4442
	s_mul_i32 s61, s66, 4                                      // 000000002B24: 923D8442
	s_mov_b32 s22, s60                                         // 000000002B28: BE96003C
	s_mov_b32 s26, -16                                         // 000000002B2C: BE9A00D0
	s_mov_b32 s30, s61                                         // 000000002B30: BE9E003D
	s_mov_b32 s14, 0x240                                       // 000000002B34: BE8E00FF 00000240
	s_mov_b32 s38, -16                                         // 000000002B3C: BEA600D0
	s_mov_b32 s10, -16                                         // 000000002B40: BE8A00D0
	s_mov_b32 s34, 0x100                                       // 000000002B44: BEA200FF 00000100
	s_mov_b32 s23, 0x20000                                     // 000000002B4C: BE9700FF 00020000
	s_mov_b32 s27, 0x20000                                     // 000000002B54: BE9B00FF 00020000
	s_mov_b32 s31, 0x20000                                     // 000000002B5C: BE9F00FF 00020000
	s_mov_b32 s35, 0x20000                                     // 000000002B64: BEA300FF 00020000
	s_mov_b32 s15, 0x20000                                     // 000000002B6C: BE8F00FF 00020000
	s_mov_b32 s39, 0x20000                                     // 000000002B74: BEA700FF 00020000
	s_mov_b32 s11, 0x20000                                     // 000000002B7C: BE8B00FF 00020000
	s_and_b32 s21, s21, 0xffff                                 // 000000002B84: 8615FF15 0000FFFF
	s_and_b32 s25, s25, 0xffff                                 // 000000002B8C: 8619FF19 0000FFFF
	s_and_b32 s29, s29, 0xffff                                 // 000000002B94: 861DFF1D 0000FFFF
	s_and_b32 s33, s33, 0xffff                                 // 000000002B9C: 8621FF21 0000FFFF
	s_and_b32 s13, s13, 0xffff                                 // 000000002BA4: 860DFF0D 0000FFFF
	s_and_b32 s37, s37, 0xffff                                 // 000000002BAC: 8625FF25 0000FFFF
	s_or_b32 s21, s21, 0x40000                                 // 000000002BB4: 8715FF15 00040000
	s_or_b32 s25, s25, 0x40000                                 // 000000002BBC: 8719FF19 00040000
	s_or_b32 s29, s29, 0x40000                                 // 000000002BC4: 871DFF1D 00040000
	s_or_b32 s33, s33, 0x40000                                 // 000000002BCC: 8721FF21 00040000
	s_or_b32 s13, s13, 0x40000                                 // 000000002BD4: 870DFF0D 00040000
	s_or_b32 s37, s37, 0x40000                                 // 000000002BDC: 8725FF25 00040000
	s_mov_b32 s42, -16                                         // 000000002BE4: BEAA00D0
	s_mov_b32 s43, 0x20000                                     // 000000002BE8: BEAB00FF 00020000
	s_and_b32 s41, s41, 0xffff                                 // 000000002BF0: 8629FF29 0000FFFF
	s_or_b32 s41, s41, 0x40000                                 // 000000002BF8: 8729FF29 00040000
	v_accvgpr_write_b32 a159, 0                                // 000000002C00: D3D9409F 18000080
	v_mov_b32_e32 v164, 0                                      // 000000002C08: 7F480280
	s_waitcnt lgkmcnt(0)                                       // 000000002C0C: BF8CC07F
	s_mul_i32 s60, s3, 0x90                                    // 000000002C10: 923CFF03 00000090
	s_cmp_lt_i32 s60, s48                                      // 000000002C18: BF04303C
	s_cbranch_scc0 label_269B                                  // 000000002C1C: BF842610
	s_mov_b32 s80, 0                                           // 000000002C20: BED00080
	s_lshr_b32 s81, s64, s88                                   // 000000002C24: 8F515840
	s_mul_i32 s60, s3, 4                                       // 000000002C28: 923C8403
	s_add_u32 s44, s60, s44                                    // 000000002C2C: 802C2C3C
	s_addc_u32 s45, 0, s45                                     // 000000002C30: 822D2D80
	s_load_dword s5, s[44:45], 0x0                             // 000000002C34: C0020156 00000000
	s_mul_i32 s60, s3, 0x90                                    // 000000002C3C: 923CFF03 00000090
	s_mul_i32 s60, 4, s60                                      // 000000002C44: 923C3C84
	s_add_u32 s12, s60, s12                                    // 000000002C48: 800C0C3C
	s_addc_u32 s13, 0, s13                                     // 000000002C4C: 820D0D80
	v_and_b32_e32 v4, 15, v0                                   // 000000002C50: 2608008F
	v_lshlrev_b32_e32 v4, 2, v4                                // 000000002C54: 24080882
	buffer_load_dword v28, v4, s[12:15], 0 offen               // 000000002C58: E0501000 80031C04
	v_add_u32_e32 v4, 64, v4                                   // 000000002C60: 680808C0
	buffer_load_dword v29, v4, s[12:15], 0 offen               // 000000002C64: E0501000 80031D04
	v_add_u32_e32 v4, 64, v4                                   // 000000002C6C: 680808C0
	buffer_load_dword v30, v4, s[12:15], 0 offen               // 000000002C70: E0501000 80031E04
	v_add_u32_e32 v4, 64, v4                                   // 000000002C78: 680808C0
	buffer_load_dword v31, v4, s[12:15], 0 offen               // 000000002C7C: E0501000 80031F04
	v_add_u32_e32 v4, 64, v4                                   // 000000002C84: 680808C0
	buffer_load_dword v32, v4, s[12:15], 0 offen               // 000000002C88: E0501000 80032004
	v_add_u32_e32 v4, 64, v4                                   // 000000002C90: 680808C0
	buffer_load_dword v33, v4, s[12:15], 0 offen               // 000000002C94: E0501000 80032104
	v_add_u32_e32 v4, 64, v4                                   // 000000002C9C: 680808C0
	buffer_load_dword v34, v4, s[12:15], 0 offen               // 000000002CA0: E0501000 80032204
	v_add_u32_e32 v4, 64, v4                                   // 000000002CA8: 680808C0
	buffer_load_dword v35, v4, s[12:15], 0 offen               // 000000002CAC: E0501000 80032304
	v_add_u32_e32 v4, 64, v4                                   // 000000002CB4: 680808C0
	buffer_load_dword v36, v4, s[12:15], 0 offen               // 000000002CB8: E0501000 80032404
	v_add_u32_e32 v4, 64, v4                                   // 000000002CC0: 680808C0
	s_mul_i32 s60, 4, s7                                       // 000000002CC4: 923C0784
	v_lshlrev_b32_e32 v4, 4, v0                                // 000000002CC8: 24080084
	v_add_u32_e32 v4, s60, v4                                  // 000000002CCC: 6808083C
	buffer_load_dword v3, v4, s[12:15], 0 offen                // 000000002CD0: E0501000 80030304
	v_mov_b32_e32 v84, 0                                       // 000000002CD8: 7EA80280
	v_mov_b32_e32 v120, 0                                      // 000000002CDC: 7EF00280
	v_mov_b32_e32 v85, 0                                       // 000000002CE0: 7EAA0280
	v_mov_b32_e32 v121, 0                                      // 000000002CE4: 7EF20280
	v_mov_b32_e32 v86, 0                                       // 000000002CE8: 7EAC0280
	v_mov_b32_e32 v122, 0                                      // 000000002CEC: 7EF40280
	v_mov_b32_e32 v87, 0                                       // 000000002CF0: 7EAE0280
	v_mov_b32_e32 v123, 0                                      // 000000002CF4: 7EF60280
	v_mov_b32_e32 v88, 0                                       // 000000002CF8: 7EB00280
	v_mov_b32_e32 v124, 0                                      // 000000002CFC: 7EF80280
	v_mov_b32_e32 v89, 0                                       // 000000002D00: 7EB20280
	v_mov_b32_e32 v125, 0                                      // 000000002D04: 7EFA0280
	v_mov_b32_e32 v90, 0                                       // 000000002D08: 7EB40280
	v_mov_b32_e32 v126, 0                                      // 000000002D0C: 7EFC0280
	v_mov_b32_e32 v91, 0                                       // 000000002D10: 7EB60280
	v_mov_b32_e32 v127, 0                                      // 000000002D14: 7EFE0280
	v_mov_b32_e32 v92, 0                                       // 000000002D18: 7EB80280
	v_mov_b32_e32 v128, 0                                      // 000000002D1C: 7F000280
	v_mov_b32_e32 v93, 0                                       // 000000002D20: 7EBA0280
	v_mov_b32_e32 v129, 0                                      // 000000002D24: 7F020280
	v_mov_b32_e32 v94, 0                                       // 000000002D28: 7EBC0280
	v_mov_b32_e32 v130, 0                                      // 000000002D2C: 7F040280
	v_mov_b32_e32 v95, 0                                       // 000000002D30: 7EBE0280
	v_mov_b32_e32 v131, 0                                      // 000000002D34: 7F060280
	v_mov_b32_e32 v96, 0                                       // 000000002D38: 7EC00280
	v_mov_b32_e32 v132, 0                                      // 000000002D3C: 7F080280
	v_mov_b32_e32 v97, 0                                       // 000000002D40: 7EC20280
	v_mov_b32_e32 v133, 0                                      // 000000002D44: 7F0A0280
	v_mov_b32_e32 v98, 0                                       // 000000002D48: 7EC40280
	v_mov_b32_e32 v134, 0                                      // 000000002D4C: 7F0C0280
	v_mov_b32_e32 v99, 0                                       // 000000002D50: 7EC60280
	v_mov_b32_e32 v135, 0                                      // 000000002D54: 7F0E0280
	v_mov_b32_e32 v100, 0                                      // 000000002D58: 7EC80280
	v_mov_b32_e32 v136, 0                                      // 000000002D5C: 7F100280
	v_mov_b32_e32 v101, 0                                      // 000000002D60: 7ECA0280
	v_mov_b32_e32 v137, 0                                      // 000000002D64: 7F120280
	v_mov_b32_e32 v102, 0                                      // 000000002D68: 7ECC0280
	v_mov_b32_e32 v138, 0                                      // 000000002D6C: 7F140280
	v_mov_b32_e32 v103, 0                                      // 000000002D70: 7ECE0280
	v_mov_b32_e32 v139, 0                                      // 000000002D74: 7F160280
	v_mov_b32_e32 v104, 0                                      // 000000002D78: 7ED00280
	v_mov_b32_e32 v140, 0                                      // 000000002D7C: 7F180280
	v_mov_b32_e32 v105, 0                                      // 000000002D80: 7ED20280
	v_mov_b32_e32 v141, 0                                      // 000000002D84: 7F1A0280
	v_mov_b32_e32 v106, 0                                      // 000000002D88: 7ED40280
	v_mov_b32_e32 v142, 0                                      // 000000002D8C: 7F1C0280
	v_mov_b32_e32 v107, 0                                      // 000000002D90: 7ED60280
	v_mov_b32_e32 v143, 0                                      // 000000002D94: 7F1E0280
	v_mov_b32_e32 v108, 0                                      // 000000002D98: 7ED80280
	v_mov_b32_e32 v144, 0                                      // 000000002D9C: 7F200280
	v_mov_b32_e32 v109, 0                                      // 000000002DA0: 7EDA0280
	v_mov_b32_e32 v145, 0                                      // 000000002DA4: 7F220280
	v_mov_b32_e32 v110, 0                                      // 000000002DA8: 7EDC0280
	v_mov_b32_e32 v146, 0                                      // 000000002DAC: 7F240280
	v_mov_b32_e32 v111, 0                                      // 000000002DB0: 7EDE0280
	v_mov_b32_e32 v147, 0                                      // 000000002DB4: 7F260280
	v_mov_b32_e32 v112, 0                                      // 000000002DB8: 7EE00280
	v_mov_b32_e32 v148, 0                                      // 000000002DBC: 7F280280
	v_mov_b32_e32 v113, 0                                      // 000000002DC0: 7EE20280
	v_mov_b32_e32 v149, 0                                      // 000000002DC4: 7F2A0280
	v_mov_b32_e32 v114, 0                                      // 000000002DC8: 7EE40280
	v_mov_b32_e32 v150, 0                                      // 000000002DCC: 7F2C0280
	v_mov_b32_e32 v115, 0                                      // 000000002DD0: 7EE60280
	v_mov_b32_e32 v151, 0                                      // 000000002DD4: 7F2E0280
	v_mov_b32_e32 v116, 0                                      // 000000002DD8: 7EE80280
	v_mov_b32_e32 v152, 0                                      // 000000002DDC: 7F300280
	v_mov_b32_e32 v117, 0                                      // 000000002DE0: 7EEA0280
	v_mov_b32_e32 v153, 0                                      // 000000002DE4: 7F320280
	v_mov_b32_e32 v118, 0                                      // 000000002DE8: 7EEC0280
	v_mov_b32_e32 v154, 0                                      // 000000002DEC: 7F340280
	v_mov_b32_e32 v119, 0                                      // 000000002DF0: 7EEE0280
	v_mov_b32_e32 v155, 0                                      // 000000002DF4: 7F360280
	s_mul_i32 s60, s2, 0x80                                    // 000000002DF8: 923CFF02 00000080
	s_cmp_eq_u32 s88, 0                                        // 000000002E00: BF068058
	s_cselect_b32 s61, 1, 2                                    // 000000002E04: 853D8281
	s_mul_i32 s60, s60, s61                                    // 000000002E08: 923C3D3C
	s_mov_b32 s90, s8                                          // 000000002E0C: BEDA0008
	s_mov_b32 s91, s9                                          // 000000002E10: BEDB0009
	s_add_u32 s8, s60, s8                                      // 000000002E14: 8008083C
	s_addc_u32 s9, 0, s9                                       // 000000002E18: 82090980
	v_lshrrev_b32_e32 v4, 4, v0                                // 000000002E1C: 20080084
	v_mul_lo_u32 v20, 34, v4                                   // 000000002E20: D2850014 000208A2
	v_and_b32_e32 v4, 15, v0                                   // 000000002E28: 2608008F
	v_mul_lo_u32 v5, 2, v4                                     // 000000002E2C: D2850005 00020882
	v_add_u32_e32 v20, v5, v20                                 // 000000002E34: 68282905
	s_mul_i32 s60, s7, 0x88                                    // 000000002E38: 923CFF07 00000088
	v_add_u32_e32 v20, s60, v20                                // 000000002E40: 6828283C
	v_lshlrev_b32_e32 v20, 2, v20                              // 000000002E44: 24282882
	v_and_b32_e32 v4, 31, v0                                   // 000000002E48: 2608009F
	v_lshrrev_b32_e32 v4, 1, v4                                // 000000002E4C: 20080881
	v_mul_lo_u32 v21, 34, v4                                   // 000000002E50: D2850015 000208A2
	v_lshrrev_b32_e32 v4, 5, v0                                // 000000002E58: 20080085
	v_mul_lo_u32 v4, 8, v4                                     // 000000002E5C: D2850004 00020888
	v_add_u32_e32 v21, v21, v4                                 // 000000002E64: 682A0915
	v_and_b32_e32 v5, 1, v0                                    // 000000002E68: 260A0081
	v_add_u32_e32 v21, v5, v21                                 // 000000002E6C: 682A2B05
	s_mul_i32 s60, s7, 2                                       // 000000002E70: 923C8207
	v_add_u32_e32 v21, s60, v21                                // 000000002E74: 682A2A3C
	v_lshlrev_b32_e32 v21, 2, v21                              // 000000002E78: 242A2A82
	s_mul_i32 s60, s7, 0x1220                                  // 000000002E7C: 923CFF07 00001220
	s_add_u32 s48, 0, s60                                      // 000000002E84: 80303C80
	s_add_u32 s49, 0x4880, s48                                 // 000000002E88: 803130FF 00004880
	v_lshrrev_b32_e32 v4, 4, v0                                // 000000002E90: 20080084
	v_lshlrev_b32_e32 v5, 2, v4                                // 000000002E94: 240A0882
	v_and_b32_e32 v4, 15, v0                                   // 000000002E98: 2608008F
	v_lshrrev_b32_e32 v6, 2, v4                                // 000000002E9C: 200C0882
	v_lshlrev_b32_e32 v6, 5, v6                                // 000000002EA0: 240C0C85
	v_add_u32_e32 v5, v6, v5                                   // 000000002EA4: 680A0B06
	v_and_b32_e32 v4, 3, v0                                    // 000000002EA8: 26080083
	v_mul_u32_u24_e32 v6, 0x488, v4                            // 000000002EAC: 100C08FF 00000488
	v_add_u32_e32 v5, v6, v5                                   // 000000002EB4: 680A0B06
	v_lshlrev_b32_e32 v2, 2, v5                                // 000000002EB8: 24040A82
	s_waitcnt lgkmcnt(0)                                       // 000000002EBC: BF8CC07F
	s_mul_i32 s60, s2, 64                                      // 000000002EC0: 923CC002
	s_mul_i32 s60, s60, s69                                    // 000000002EC4: 923C453C
	s_mul_i32 s61, s5, s72                                     // 000000002EC8: 923D4805
	s_add_u32 s60, s61, s60                                    // 000000002ECC: 803C3C3D
	s_add_u32 s24, s60, s24                                    // 000000002ED0: 8018183C
	s_addc_u32 s25, 0, s25                                     // 000000002ED4: 82191980
	s_lshr_b32 s60, s64, s88                                   // 000000002ED8: 8F3C5840
	s_mul_i32 s60, s4, s60                                     // 000000002EDC: 923C3C04
	s_lshr_b32 s60, s60, 7                                     // 000000002EE0: 8F3C873C
	s_mul_i32 s60, s60, 0x800                                  // 000000002EE4: 923CFF3C 00000800
	s_add_u32 s24, s60, s24                                    // 000000002EEC: 8018183C
	s_addc_u32 s25, 0, s25                                     // 000000002EF0: 82191980
	s_lshr_b32 s60, s69, s88                                   // 000000002EF4: 8F3C5845
	s_mul_i32 s60, s4, s60                                     // 000000002EF8: 923C3C04
	s_add_u32 s20, s60, s20                                    // 000000002EFC: 8014143C
	s_addc_u32 s21, 0, s21                                     // 000000002F00: 82151580
	s_mul_i32 s60, s7, 16                                      // 000000002F04: 923C9007
	s_mul_i32 s60, s60, s69                                    // 000000002F08: 923C453C
	v_lshlrev_b32_e32 v82, 4, v0                               // 000000002F0C: 24A40084
	v_add_u32_e32 v82, s60, v82                                // 000000002F10: 68A4A43C
	s_mul_i32 s60, 64, s69                                     // 000000002F14: 923C45C0
	s_mov_b32 s84, s24                                         // 000000002F18: BED40018
	s_mov_b32 s85, s25                                         // 000000002F1C: BED50019
	s_mov_b32 s86, s26                                         // 000000002F20: BED6001A
	s_mov_b32 s87, s27                                         // 000000002F24: BED7001B
	s_mul_i32 s60, s69, s65                                    // 000000002F28: 923C4145
	s_add_u32 s84, s60, s84                                    // 000000002F2C: 8054543C
	s_addc_u32 s85, 0, s85                                     // 000000002F30: 82555580
	v_lshrrev_b32_e32 v4, 4, v0                                // 000000002F34: 20080084
	v_lshlrev_b32_e32 v5, 2, v4                                // 000000002F38: 240A0882
	v_and_b32_e32 v4, 15, v0                                   // 000000002F3C: 2608008F
	v_lshrrev_b32_e32 v6, 2, v4                                // 000000002F40: 200C0882
	v_lshlrev_b32_e32 v6, 6, v6                                // 000000002F44: 240C0C86
	v_add_u32_e32 v5, v6, v5                                   // 000000002F48: 680A0B06
	v_and_b32_e32 v4, 3, v0                                    // 000000002F4C: 26080083
	v_add_u32_e32 v5, v4, v5                                   // 000000002F50: 680A0B04
	v_lshlrev_b32_e32 v22, 2, v5                               // 000000002F54: 242C0A82
	s_mul_i32 s60, s7, 16                                      // 000000002F58: 923C9007
	s_mul_i32 s60, s60, 4                                      // 000000002F5C: 923C843C
	v_add_u32_e32 v22, s60, v22                                // 000000002F60: 682C2C3C
	s_mul_i32 s60, s2, 64                                      // 000000002F64: 923CC002
	s_mul_i32 s60, s60, 4                                      // 000000002F68: 923C843C
	s_mul_i32 s61, s5, s74                                     // 000000002F6C: 923D4A05
	s_add_u32 s61, s61, s60                                    // 000000002F70: 803D3C3D
	s_add_u32 s32, s61, s32                                    // 000000002F74: 8020203D
	s_addc_u32 s33, 0, s33                                     // 000000002F78: 82212180
	s_mov_b32 s57, 0x80                                        // 000000002F7C: BEB900FF 00000080
	s_mov_b32 s58, 0x800                                       // 000000002F84: BEBA00FF 00000800
	s_mov_b32 s83, s58                                         // 000000002F8C: BED3003A
	s_mov_b32 s52, 0x7060302                                   // 000000002F90: BEB400FF 07060302
	s_mov_b32 s53, 0x400                                       // 000000002F98: BEB500FF 00000400
	s_mov_b32 s54, 0x40100                                     // 000000002FA0: BEB600FF 00040100
	s_mov_b32 s55, 0x4020100                                   // 000000002FA8: BEB700FF 04020100
	s_mov_b32 s6, 0x3fb8aa3b                                   // 000000002FB0: BE8600FF 3FB8AA3B
	s_mov_b32 s78, 0xbd92220c                                  // 000000002FB8: BECE00FF BD92220C
	s_mov_b32 s79, 0xbd92220c                                  // 000000002FC0: BECF00FF BD92220C
	s_mov_b32 m0, s48                                          // 000000002FC8: BEFC0030
	v_mov_b32_e32 v1, 0xbfcc4231                               // 000000002FCC: 7E0202FF BFCC4231
	v_mov_b32_e32 v17, 0xffff0000                              // 000000002FD4: 7E2202FF FFFF0000
	v_mov_b32_e32 v18, 0x7fff0000                              // 000000002FDC: 7E2402FF 7FFF0000
	v_mov_b32_e32 v19, 0x7fff                                  // 000000002FE4: 7E2602FF 00007FFF
	s_waitcnt vmcnt(0) expcnt(0) lgkmcnt(0)                    // 000000002FEC: BF8C0000
	s_mul_i32 s60, s3, 0x90                                    // 000000002FF0: 923CFF03 00000090
	s_mul_i32 s60, 4, s60                                      // 000000002FF8: 923C3C84
	s_add_u32 s40, s60, s40                                    // 000000002FFC: 8028283C
	s_addc_u32 s41, 0, s41                                     // 000000003000: 82292980
	v_and_b32_e32 v4, 15, v0                                   // 000000003004: 2608008F
	v_lshlrev_b32_e32 v4, 2, v4                                // 000000003008: 24080882
	buffer_load_dword v156, v4, s[40:43], 0 offen              // 00000000300C: E0501000 800A9C04
	buffer_load_dword v157, v4, s[40:43], 0 offen offset:64    // 000000003014: E0501040 800A9D04
	buffer_load_dword v158, v4, s[40:43], 0 offen offset:128   // 00000000301C: E0501080 800A9E04
	buffer_load_dword v159, v4, s[40:43], 0 offen offset:192   // 000000003024: E05010C0 800A9F04
	buffer_load_dword v160, v4, s[40:43], 0 offen offset:256   // 00000000302C: E0501100 800AA004
	buffer_load_dword v161, v4, s[40:43], 0 offen offset:320   // 000000003034: E0501140 800AA104
	buffer_load_dword v162, v4, s[40:43], 0 offen offset:384   // 00000000303C: E0501180 800AA204
	buffer_load_dword v163, v4, s[40:43], 0 offen offset:448   // 000000003044: E05011C0 800AA304
	buffer_load_dword v164, v4, s[40:43], 0 offen offset:512   // 00000000304C: E0501200 800AA404
	v_lshrrev_b32_e32 v4, 5, v0                                // 000000003054: 20080085
	v_xor_b32_e32 v5, 1, v4                                    // 000000003058: 2A0A0881
	v_readlane_b32 s82, v3, 0                                  // 00000000305C: D2890052 00010103
	s_and_b32 s82, s82, 0xffffff                               // 000000003064: 8652FF52 00FFFFFF
	v_mul_lo_u32 v6, v5, s82                                   // 00000000306C: D2850006 0000A505
	v_readlane_b32 s82, v3, 1                                  // 000000003074: D2890052 00010303
	s_and_b32 s82, s82, 0xffffff                               // 00000000307C: 8652FF52 00FFFFFF
	v_mul_lo_u32 v7, v4, s82                                   // 000000003084: D2850007 0000A504
	v_add_u32_e32 v64, v6, v7                                  // 00000000308C: 68800F06
	v_mul_lo_u32 v64, v64, s68                                 // 000000003090: D2850040 00008940
	v_readlane_b32 s82, v3, 2                                  // 000000003098: D2890052 00010503
	s_and_b32 s82, s82, 0xffffff                               // 0000000030A0: 8652FF52 00FFFFFF
	v_mul_lo_u32 v6, v5, s82                                   // 0000000030A8: D2850006 0000A505
	v_readlane_b32 s82, v3, 3                                  // 0000000030B0: D2890052 00010703
	s_and_b32 s82, s82, 0xffffff                               // 0000000030B8: 8652FF52 00FFFFFF
	v_mul_lo_u32 v7, v4, s82                                   // 0000000030C0: D2850007 0000A504
	v_add_u32_e32 v65, v6, v7                                  // 0000000030C8: 68820F06
	v_mul_lo_u32 v65, v65, s68                                 // 0000000030CC: D2850041 00008941
	v_readlane_b32 s82, v3, 4                                  // 0000000030D4: D2890052 00010903
	s_and_b32 s82, s82, 0xffffff                               // 0000000030DC: 8652FF52 00FFFFFF
	v_mul_lo_u32 v6, v5, s82                                   // 0000000030E4: D2850006 0000A505
	v_readlane_b32 s82, v3, 5                                  // 0000000030EC: D2890052 00010B03
	s_and_b32 s82, s82, 0xffffff                               // 0000000030F4: 8652FF52 00FFFFFF
	v_mul_lo_u32 v7, v4, s82                                   // 0000000030FC: D2850007 0000A504
	v_add_u32_e32 v66, v6, v7                                  // 000000003104: 68840F06
	v_mul_lo_u32 v66, v66, s68                                 // 000000003108: D2850042 00008942
	v_readlane_b32 s82, v3, 6                                  // 000000003110: D2890052 00010D03
	s_and_b32 s82, s82, 0xffffff                               // 000000003118: 8652FF52 00FFFFFF
	v_mul_lo_u32 v6, v5, s82                                   // 000000003120: D2850006 0000A505
	v_readlane_b32 s82, v3, 7                                  // 000000003128: D2890052 00010F03
	s_and_b32 s82, s82, 0xffffff                               // 000000003130: 8652FF52 00FFFFFF
	v_mul_lo_u32 v7, v4, s82                                   // 000000003138: D2850007 0000A504
	v_add_u32_e32 v67, v6, v7                                  // 000000003140: 68860F06
	v_mul_lo_u32 v67, v67, s68                                 // 000000003144: D2850043 00008943
	v_readlane_b32 s82, v3, 8                                  // 00000000314C: D2890052 00011103
	s_and_b32 s82, s82, 0xffffff                               // 000000003154: 8652FF52 00FFFFFF
	v_mul_lo_u32 v6, v5, s82                                   // 00000000315C: D2850006 0000A505
	v_readlane_b32 s82, v3, 9                                  // 000000003164: D2890052 00011303
	s_and_b32 s82, s82, 0xffffff                               // 00000000316C: 8652FF52 00FFFFFF
	v_mul_lo_u32 v7, v4, s82                                   // 000000003174: D2850007 0000A504
	v_add_u32_e32 v68, v6, v7                                  // 00000000317C: 68880F06
	v_mul_lo_u32 v68, v68, s68                                 // 000000003180: D2850044 00008944
	v_readlane_b32 s82, v3, 10                                 // 000000003188: D2890052 00011503
	s_and_b32 s82, s82, 0xffffff                               // 000000003190: 8652FF52 00FFFFFF
	v_mul_lo_u32 v6, v5, s82                                   // 000000003198: D2850006 0000A505
	v_readlane_b32 s82, v3, 11                                 // 0000000031A0: D2890052 00011703
	s_and_b32 s82, s82, 0xffffff                               // 0000000031A8: 8652FF52 00FFFFFF
	v_mul_lo_u32 v7, v4, s82                                   // 0000000031B0: D2850007 0000A504
	v_add_u32_e32 v69, v6, v7                                  // 0000000031B8: 688A0F06
	v_mul_lo_u32 v69, v69, s68                                 // 0000000031BC: D2850045 00008945
	v_readlane_b32 s82, v3, 12                                 // 0000000031C4: D2890052 00011903
	s_and_b32 s82, s82, 0xffffff                               // 0000000031CC: 8652FF52 00FFFFFF
	v_mul_lo_u32 v6, v5, s82                                   // 0000000031D4: D2850006 0000A505
	v_readlane_b32 s82, v3, 13                                 // 0000000031DC: D2890052 00011B03
	s_and_b32 s82, s82, 0xffffff                               // 0000000031E4: 8652FF52 00FFFFFF
	v_mul_lo_u32 v7, v4, s82                                   // 0000000031EC: D2850007 0000A504
	v_add_u32_e32 v70, v6, v7                                  // 0000000031F4: 688C0F06
	v_mul_lo_u32 v70, v70, s68                                 // 0000000031F8: D2850046 00008946
	v_readlane_b32 s82, v3, 14                                 // 000000003200: D2890052 00011D03
	s_and_b32 s82, s82, 0xffffff                               // 000000003208: 8652FF52 00FFFFFF
	v_mul_lo_u32 v6, v5, s82                                   // 000000003210: D2850006 0000A505
	v_readlane_b32 s82, v3, 15                                 // 000000003218: D2890052 00011F03
	s_and_b32 s82, s82, 0xffffff                               // 000000003220: 8652FF52 00FFFFFF
	v_mul_lo_u32 v7, v4, s82                                   // 000000003228: D2850007 0000A504
	v_add_u32_e32 v71, v6, v7                                  // 000000003230: 688E0F06
	v_mul_lo_u32 v71, v71, s68                                 // 000000003234: D2850047 00008947
	v_readlane_b32 s82, v3, 16                                 // 00000000323C: D2890052 00012103
	s_and_b32 s82, s82, 0xffffff                               // 000000003244: 8652FF52 00FFFFFF
	v_mul_lo_u32 v6, v5, s82                                   // 00000000324C: D2850006 0000A505
	v_readlane_b32 s82, v3, 17                                 // 000000003254: D2890052 00012303
	s_and_b32 s82, s82, 0xffffff                               // 00000000325C: 8652FF52 00FFFFFF
	v_mul_lo_u32 v7, v4, s82                                   // 000000003264: D2850007 0000A504
	v_add_u32_e32 v72, v6, v7                                  // 00000000326C: 68900F06
	v_mul_lo_u32 v72, v72, s68                                 // 000000003270: D2850048 00008948
	v_readlane_b32 s82, v3, 18                                 // 000000003278: D2890052 00012503
	s_and_b32 s82, s82, 0xffffff                               // 000000003280: 8652FF52 00FFFFFF
	v_mul_lo_u32 v6, v5, s82                                   // 000000003288: D2850006 0000A505
	v_readlane_b32 s82, v3, 19                                 // 000000003290: D2890052 00012703
	s_and_b32 s82, s82, 0xffffff                               // 000000003298: 8652FF52 00FFFFFF
	v_mul_lo_u32 v7, v4, s82                                   // 0000000032A0: D2850007 0000A504
	v_add_u32_e32 v73, v6, v7                                  // 0000000032A8: 68920F06
	v_mul_lo_u32 v73, v73, s68                                 // 0000000032AC: D2850049 00008949
	v_readlane_b32 s82, v3, 20                                 // 0000000032B4: D2890052 00012903
	s_and_b32 s82, s82, 0xffffff                               // 0000000032BC: 8652FF52 00FFFFFF
	v_mul_lo_u32 v6, v5, s82                                   // 0000000032C4: D2850006 0000A505
	v_readlane_b32 s82, v3, 21                                 // 0000000032CC: D2890052 00012B03
	s_and_b32 s82, s82, 0xffffff                               // 0000000032D4: 8652FF52 00FFFFFF
	v_mul_lo_u32 v7, v4, s82                                   // 0000000032DC: D2850007 0000A504
	v_add_u32_e32 v74, v6, v7                                  // 0000000032E4: 68940F06
	v_mul_lo_u32 v74, v74, s68                                 // 0000000032E8: D285004A 0000894A
	v_readlane_b32 s82, v3, 22                                 // 0000000032F0: D2890052 00012D03
	s_and_b32 s82, s82, 0xffffff                               // 0000000032F8: 8652FF52 00FFFFFF
	v_mul_lo_u32 v6, v5, s82                                   // 000000003300: D2850006 0000A505
	v_readlane_b32 s82, v3, 23                                 // 000000003308: D2890052 00012F03
	s_and_b32 s82, s82, 0xffffff                               // 000000003310: 8652FF52 00FFFFFF
	v_mul_lo_u32 v7, v4, s82                                   // 000000003318: D2850007 0000A504
	v_add_u32_e32 v75, v6, v7                                  // 000000003320: 68960F06
	v_mul_lo_u32 v75, v75, s68                                 // 000000003324: D285004B 0000894B
	v_readlane_b32 s82, v3, 24                                 // 00000000332C: D2890052 00013103
	s_and_b32 s82, s82, 0xffffff                               // 000000003334: 8652FF52 00FFFFFF
	v_mul_lo_u32 v6, v5, s82                                   // 00000000333C: D2850006 0000A505
	v_readlane_b32 s82, v3, 25                                 // 000000003344: D2890052 00013303
	s_and_b32 s82, s82, 0xffffff                               // 00000000334C: 8652FF52 00FFFFFF
	v_mul_lo_u32 v7, v4, s82                                   // 000000003354: D2850007 0000A504
	v_add_u32_e32 v76, v6, v7                                  // 00000000335C: 68980F06
	v_mul_lo_u32 v76, v76, s68                                 // 000000003360: D285004C 0000894C
	v_readlane_b32 s82, v3, 26                                 // 000000003368: D2890052 00013503
	s_and_b32 s82, s82, 0xffffff                               // 000000003370: 8652FF52 00FFFFFF
	v_mul_lo_u32 v6, v5, s82                                   // 000000003378: D2850006 0000A505
	v_readlane_b32 s82, v3, 27                                 // 000000003380: D2890052 00013703
	s_and_b32 s82, s82, 0xffffff                               // 000000003388: 8652FF52 00FFFFFF
	v_mul_lo_u32 v7, v4, s82                                   // 000000003390: D2850007 0000A504
	v_add_u32_e32 v77, v6, v7                                  // 000000003398: 689A0F06
	v_mul_lo_u32 v77, v77, s68                                 // 00000000339C: D285004D 0000894D
	v_readlane_b32 s82, v3, 28                                 // 0000000033A4: D2890052 00013903
	s_and_b32 s82, s82, 0xffffff                               // 0000000033AC: 8652FF52 00FFFFFF
	v_mul_lo_u32 v6, v5, s82                                   // 0000000033B4: D2850006 0000A505
	v_readlane_b32 s82, v3, 29                                 // 0000000033BC: D2890052 00013B03
	s_and_b32 s82, s82, 0xffffff                               // 0000000033C4: 8652FF52 00FFFFFF
	v_mul_lo_u32 v7, v4, s82                                   // 0000000033CC: D2850007 0000A504
	v_add_u32_e32 v78, v6, v7                                  // 0000000033D4: 689C0F06
	v_mul_lo_u32 v78, v78, s68                                 // 0000000033D8: D285004E 0000894E
	v_readlane_b32 s82, v3, 30                                 // 0000000033E0: D2890052 00013D03
	s_and_b32 s82, s82, 0xffffff                               // 0000000033E8: 8652FF52 00FFFFFF
	v_mul_lo_u32 v6, v5, s82                                   // 0000000033F0: D2850006 0000A505
	v_readlane_b32 s82, v3, 31                                 // 0000000033F8: D2890052 00013F03
	s_and_b32 s82, s82, 0xffffff                               // 000000003400: 8652FF52 00FFFFFF
	v_mul_lo_u32 v7, v4, s82                                   // 000000003408: D2850007 0000A504
	v_add_u32_e32 v79, v6, v7                                  // 000000003410: 689E0F06
	v_mul_lo_u32 v79, v79, s68                                 // 000000003414: D285004F 0000894F
	v_readlane_b32 s82, v3, 32                                 // 00000000341C: D2890052 00014103
	s_and_b32 s82, s82, 0xffffff                               // 000000003424: 8652FF52 00FFFFFF
	v_mul_lo_u32 v6, v5, s82                                   // 00000000342C: D2850006 0000A505
	v_readlane_b32 s82, v3, 33                                 // 000000003434: D2890052 00014303
	s_and_b32 s82, s82, 0xffffff                               // 00000000343C: 8652FF52 00FFFFFF
	v_mul_lo_u32 v7, v4, s82                                   // 000000003444: D2850007 0000A504
	v_add_u32_e32 v80, v6, v7                                  // 00000000344C: 68A00F06
	v_mul_lo_u32 v80, v80, s68                                 // 000000003450: D2850050 00008950
	v_readlane_b32 s82, v3, 34                                 // 000000003458: D2890052 00014503
	s_and_b32 s82, s82, 0xffffff                               // 000000003460: 8652FF52 00FFFFFF
	v_mul_lo_u32 v6, v5, s82                                   // 000000003468: D2850006 0000A505
	v_readlane_b32 s82, v3, 35                                 // 000000003470: D2890052 00014703
	s_and_b32 s82, s82, 0xffffff                               // 000000003478: 8652FF52 00FFFFFF
	v_mul_lo_u32 v7, v4, s82                                   // 000000003480: D2850007 0000A504
	v_add_u32_e32 v81, v6, v7                                  // 000000003488: 68A20F06
	v_mul_lo_u32 v81, v81, s68                                 // 00000000348C: D2850051 00008951
	v_and_b32_e32 v4, 31, v0                                   // 000000003494: 2608009F
	v_lshlrev_b32_e32 v4, 2, v4                                // 000000003498: 24080882
	v_add_u32_e32 v64, v64, v4                                 // 00000000349C: 68800940
	v_add_u32_e32 v65, v65, v4                                 // 0000000034A0: 68820941
	v_add_u32_e32 v66, v66, v4                                 // 0000000034A4: 68840942
	v_add_u32_e32 v67, v67, v4                                 // 0000000034A8: 68860943
	v_add_u32_e32 v68, v68, v4                                 // 0000000034AC: 68880944
	v_add_u32_e32 v69, v69, v4                                 // 0000000034B0: 688A0945
	v_add_u32_e32 v70, v70, v4                                 // 0000000034B4: 688C0946
	v_add_u32_e32 v71, v71, v4                                 // 0000000034B8: 688E0947
	v_add_u32_e32 v72, v72, v4                                 // 0000000034BC: 68900948
	v_add_u32_e32 v73, v73, v4                                 // 0000000034C0: 68920949
	v_add_u32_e32 v74, v74, v4                                 // 0000000034C4: 6894094A
	v_add_u32_e32 v75, v75, v4                                 // 0000000034C8: 6896094B
	v_add_u32_e32 v76, v76, v4                                 // 0000000034CC: 6898094C
	v_add_u32_e32 v77, v77, v4                                 // 0000000034D0: 689A094D
	v_add_u32_e32 v78, v78, v4                                 // 0000000034D4: 689C094E
	v_add_u32_e32 v79, v79, v4                                 // 0000000034D8: 689E094F
	v_add_u32_e32 v80, v80, v4                                 // 0000000034DC: 68A00950
	v_add_u32_e32 v81, v81, v4                                 // 0000000034E0: 68A20951
	v_and_b32_e32 v28, 0xffffff, v28                           // 0000000034E4: 263838FF 00FFFFFF
	v_lshlrev_b32_e32 v28, 2, v28                              // 0000000034EC: 24383882
	v_and_b32_e32 v29, 0xffffff, v29                           // 0000000034F0: 263A3AFF 00FFFFFF
	v_lshlrev_b32_e32 v29, 2, v29                              // 0000000034F8: 243A3A82
	v_and_b32_e32 v30, 0xffffff, v30                           // 0000000034FC: 263C3CFF 00FFFFFF
	v_lshlrev_b32_e32 v30, 2, v30                              // 000000003504: 243C3C82
	v_and_b32_e32 v31, 0xffffff, v31                           // 000000003508: 263E3EFF 00FFFFFF
	v_lshlrev_b32_e32 v31, 2, v31                              // 000000003510: 243E3E82
	v_and_b32_e32 v32, 0xffffff, v32                           // 000000003514: 264040FF 00FFFFFF
	v_lshlrev_b32_e32 v32, 2, v32                              // 00000000351C: 24404082
	v_and_b32_e32 v33, 0xffffff, v33                           // 000000003520: 264242FF 00FFFFFF
	v_lshlrev_b32_e32 v33, 2, v33                              // 000000003528: 24424282
	v_and_b32_e32 v34, 0xffffff, v34                           // 00000000352C: 264444FF 00FFFFFF
	v_lshlrev_b32_e32 v34, 2, v34                              // 000000003534: 24444482
	v_and_b32_e32 v35, 0xffffff, v35                           // 000000003538: 264646FF 00FFFFFF
	v_lshlrev_b32_e32 v35, 2, v35                              // 000000003540: 24464682
	v_and_b32_e32 v36, 0xffffff, v36                           // 000000003544: 264848FF 00FFFFFF
	v_lshlrev_b32_e32 v36, 2, v36                              // 00000000354C: 24484882
	s_lshl_b32 s3, s66, 2                                      // 000000003550: 8E038242
	buffer_load_dword v37, v28, s[28:31], 0 offen              // 000000003554: E0501000 8007251C
	buffer_load_dword v38, v29, s[28:31], 0 offen              // 00000000355C: E0501000 8007261D
	buffer_load_dword v39, v30, s[28:31], 0 offen              // 000000003564: E0501000 8007271E
	buffer_load_dword v40, v31, s[28:31], 0 offen              // 00000000356C: E0501000 8007281F
	buffer_load_dword v41, v32, s[28:31], 0 offen              // 000000003574: E0501000 80072920
	buffer_load_dword v42, v33, s[28:31], 0 offen              // 00000000357C: E0501000 80072A21
	buffer_load_dword v43, v34, s[28:31], 0 offen              // 000000003584: E0501000 80072B22
	buffer_load_dword v44, v35, s[28:31], 0 offen              // 00000000358C: E0501000 80072C23
	buffer_load_dword v45, v36, s[28:31], 0 offen              // 000000003594: E0501000 80072D24
	buffer_load_dword v24, v22, s[32:35], 0 offen              // 00000000359C: E0501000 80081816
	s_mul_i32 s60, 4, s65                                      // 0000000035A4: 923C4184
	s_add_u32 s32, s60, s32                                    // 0000000035A8: 8020203C
	s_addc_u32 s33, 0, s33                                     // 0000000035AC: 82212180
	buffer_load_dword v26, v22, s[32:35], 0 offen              // 0000000035B0: E0501000 80081A16
	buffer_load_dword v64, s[20:23], 0 offen lds               // 0000000035B8: E0511000 80050040
	s_add_u32 m0, 0x100, s48                                   // 0000000035C0: 807C30FF 00000100
	buffer_load_dword v65, s[20:23], 0 offen lds               // 0000000035C8: E0511000 80050041
	s_add_u32 m0, 0x200, s48                                   // 0000000035D0: 807C30FF 00000200
	buffer_load_dword v66, s[20:23], 0 offen lds               // 0000000035D8: E0511000 80050042
	s_add_u32 m0, 0x300, s48                                   // 0000000035E0: 807C30FF 00000300
	buffer_load_dword v67, s[20:23], 0 offen lds               // 0000000035E8: E0511000 80050043
	s_add_u32 m0, 0x400, s48                                   // 0000000035F0: 807C30FF 00000400
	buffer_load_dword v68, s[20:23], 0 offen lds               // 0000000035F8: E0511000 80050044
	s_add_u32 m0, 0x500, s48                                   // 000000003600: 807C30FF 00000500
	buffer_load_dword v69, s[20:23], 0 offen lds               // 000000003608: E0511000 80050045
	s_add_u32 m0, 0x600, s48                                   // 000000003610: 807C30FF 00000600
	buffer_load_dword v70, s[20:23], 0 offen lds               // 000000003618: E0511000 80050046
	;; [unrolled: 2-line block ×5, first 2 shown]
	s_add_u32 m0, 0xa00, s48                                   // 000000003650: 807C30FF 00000A00
	buffer_load_dword v74, s[20:23], 0 offen lds               // 000000003658: E0511000 8005004A
	s_add_u32 m0, 0xb00, s48                                   // 000000003660: 807C30FF 00000B00
	buffer_load_dword v75, s[20:23], 0 offen lds               // 000000003668: E0511000 8005004B
	s_add_u32 m0, 0xc00, s48                                   // 000000003670: 807C30FF 00000C00
	buffer_load_dword v76, s[20:23], 0 offen lds               // 000000003678: E0511000 8005004C
	s_add_u32 m0, 0xd00, s48                                   // 000000003680: 807C30FF 00000D00
	buffer_load_dword v77, s[20:23], 0 offen lds               // 000000003688: E0511000 8005004D
	s_add_u32 m0, 0xe00, s48                                   // 000000003690: 807C30FF 00000E00
	buffer_load_dword v78, s[20:23], 0 offen lds               // 000000003698: E0511000 8005004E
	s_add_u32 m0, 0xf00, s48                                   // 0000000036A0: 807C30FF 00000F00
	buffer_load_dword v79, s[20:23], 0 offen lds               // 0000000036A8: E0511000 8005004F
	s_add_u32 m0, 0x1000, s48                                  // 0000000036B0: 807C30FF 00001000
	buffer_load_dword v80, s[20:23], 0 offen lds               // 0000000036B8: E0511000 80050050
	s_add_u32 m0, 0x1100, s48                                  // 0000000036C0: 807C30FF 00001100
	buffer_load_dword v81, s[20:23], 0 offen lds               // 0000000036C8: E0511000 80050051
	s_add_u32 m0, 0, s49                                       // 0000000036D0: 807C3180
	s_add_u32 s20, s57, s20                                    // 0000000036D4: 80141439
	s_addc_u32 s21, 0, s21                                     // 0000000036D8: 82151580
	buffer_load_dword v64, s[20:23], 0 offen lds               // 0000000036DC: E0511000 80050040
	s_add_u32 m0, 0x100, s49                                   // 0000000036E4: 807C31FF 00000100
	buffer_load_dword v65, s[20:23], 0 offen lds               // 0000000036EC: E0511000 80050041
	s_add_u32 m0, 0x200, s49                                   // 0000000036F4: 807C31FF 00000200
	buffer_load_dword v66, s[20:23], 0 offen lds               // 0000000036FC: E0511000 80050042
	s_add_u32 m0, 0x300, s49                                   // 000000003704: 807C31FF 00000300
	buffer_load_dword v67, s[20:23], 0 offen lds               // 00000000370C: E0511000 80050043
	s_add_u32 m0, 0x400, s49                                   // 000000003714: 807C31FF 00000400
	buffer_load_dword v68, s[20:23], 0 offen lds               // 00000000371C: E0511000 80050044
	s_add_u32 m0, 0x500, s49                                   // 000000003724: 807C31FF 00000500
	buffer_load_dword v69, s[20:23], 0 offen lds               // 00000000372C: E0511000 80050045
	s_add_u32 m0, 0x600, s49                                   // 000000003734: 807C31FF 00000600
	buffer_load_dword v70, s[20:23], 0 offen lds               // 00000000373C: E0511000 80050046
	s_add_u32 m0, 0x700, s49                                   // 000000003744: 807C31FF 00000700
	buffer_load_dword v71, s[20:23], 0 offen lds               // 00000000374C: E0511000 80050047
	s_add_u32 m0, 0x800, s49                                   // 000000003754: 807C31FF 00000800
	buffer_load_dword v72, s[20:23], 0 offen lds               // 00000000375C: E0511000 80050048
	s_add_u32 m0, 0x900, s49                                   // 000000003764: 807C31FF 00000900
	buffer_load_dword v73, s[20:23], 0 offen lds               // 00000000376C: E0511000 80050049
	s_add_u32 m0, 0xa00, s49                                   // 000000003774: 807C31FF 00000A00
	buffer_load_dword v74, s[20:23], 0 offen lds               // 00000000377C: E0511000 8005004A
	s_add_u32 m0, 0xb00, s49                                   // 000000003784: 807C31FF 00000B00
	buffer_load_dword v75, s[20:23], 0 offen lds               // 00000000378C: E0511000 8005004B
	s_add_u32 m0, 0xc00, s49                                   // 000000003794: 807C31FF 00000C00
	buffer_load_dword v76, s[20:23], 0 offen lds               // 00000000379C: E0511000 8005004C
	s_add_u32 m0, 0xd00, s49                                   // 0000000037A4: 807C31FF 00000D00
	buffer_load_dword v77, s[20:23], 0 offen lds               // 0000000037AC: E0511000 8005004D
	s_add_u32 m0, 0xe00, s49                                   // 0000000037B4: 807C31FF 00000E00
	buffer_load_dword v78, s[20:23], 0 offen lds               // 0000000037BC: E0511000 8005004E
	s_add_u32 m0, 0xf00, s49                                   // 0000000037C4: 807C31FF 00000F00
	buffer_load_dword v79, s[20:23], 0 offen lds               // 0000000037CC: E0511000 8005004F
	s_add_u32 m0, 0x1000, s49                                  // 0000000037D4: 807C31FF 00001000
	buffer_load_dword v80, s[20:23], 0 offen lds               // 0000000037DC: E0511000 80050050
	s_add_u32 m0, 0x1100, s49                                  // 0000000037E4: 807C31FF 00001100
	buffer_load_dword v81, s[20:23], 0 offen lds               // 0000000037EC: E0511000 80050051
	s_add_u32 m0, 0, s48                                       // 0000000037F4: 807C3080
	s_add_u32 s20, s57, s20                                    // 0000000037F8: 80141439
	s_addc_u32 s21, 0, s21                                     // 0000000037FC: 82151580
	buffer_load_dwordx4 a[144:147], v82, s[24:27], 0 offen     // 000000003800: E05C1000 80869052
	buffer_load_dwordx4 a[148:151], v82, s[24:27], 0 offen offset:1024// 000000003808: E05C1400 80869452
	s_add_u32 s24, s58, s24                                    // 000000003810: 8018183A
	s_addc_u32 s25, 0, s25                                     // 000000003814: 82191980
	s_waitcnt vmcnt(20)                                        // 000000003818: BF8C4F74
	s_barrier                                                  // 00000000381C: BF8A0000
	ds_read_b128 a[0:3], v2                                    // 000000003820: DBFE0000 00000002
	ds_read_b128 a[4:7], v2 offset:64                          // 000000003828: DBFE0040 04000002
	ds_read_b128 a[8:11], v2 offset:512                        // 000000003830: DBFE0200 08000002
	ds_read_b128 a[12:15], v2 offset:576                       // 000000003838: DBFE0240 0C000002
	ds_read_b128 a[16:19], v2 offset:1024                      // 000000003840: DBFE0400 10000002
	ds_read_b128 a[20:23], v2 offset:1088                      // 000000003848: DBFE0440 14000002
	ds_read_b128 a[24:27], v2 offset:1536                      // 000000003850: DBFE0600 18000002
	ds_read_b128 a[28:31], v2 offset:1600                      // 000000003858: DBFE0640 1C000002
	ds_read_b128 a[32:35], v2 offset:2048                      // 000000003860: DBFE0800 20000002
	ds_read_b128 a[36:39], v2 offset:2112                      // 000000003868: DBFE0840 24000002
	ds_read_b128 a[40:43], v2 offset:2560                      // 000000003870: DBFE0A00 28000002
	ds_read_b128 a[44:47], v2 offset:2624                      // 000000003878: DBFE0A40 2C000002
	ds_read_b128 a[48:51], v2 offset:3072                      // 000000003880: DBFE0C00 30000002
	ds_read_b128 a[52:55], v2 offset:3136                      // 000000003888: DBFE0C40 34000002
	ds_read_b128 a[56:59], v2 offset:3584                      // 000000003890: DBFE0E00 38000002
	ds_read_b128 a[60:63], v2 offset:3648                      // 000000003898: DBFE0E40 3C000002
	ds_read_b128 a[64:67], v2 offset:4096                      // 0000000038A0: DBFE1000 40000002
	ds_read_b128 a[68:71], v2 offset:4160                      // 0000000038A8: DBFE1040 44000002
	s_cmp_lt_i32 s7, 2                                         // 0000000038B0: BF048207
	s_cbranch_scc0 label_1526                                  // 0000000038B4: BF841175

00000000000038b8 <label_03AE>:
	s_waitcnt vmcnt(0) lgkmcnt(0)                              // 0000000038B8: BF8C0070
	s_barrier                                                  // 0000000038BC: BF8A0000
	v_mfma_f32_16x16x32_fp8_fp8 v[84:87], a[144:145], a[0:1], v[84:87]// 0000000038C0: D3F30054 1D520190
	v_mfma_f32_16x16x32_fp8_fp8 v[84:87], a[146:147], a[2:3], v[84:87]// 0000000038C8: D3F30054 1D520592
	buffer_load_dwordx4 a[152:155], v82, s[84:87], 0 offen     // 0000000038D0: E05C1000 80959852
	v_mfma_f32_16x16x32_fp8_fp8 v[84:87], a[148:149], a[4:5], v[84:87]// 0000000038D8: D3F30054 1D520994
	v_mfma_f32_16x16x32_fp8_fp8 v[84:87], a[150:151], a[6:7], v[84:87]// 0000000038E0: D3F30054 1D520D96
	v_mfma_f32_16x16x32_fp8_fp8 v[88:91], a[144:145], a[8:9], v[88:91]// 0000000038E8: D3F30058 1D621190
	v_mfma_f32_16x16x32_fp8_fp8 v[88:91], a[146:147], a[10:11], v[88:91]// 0000000038F0: D3F30058 1D621592
	buffer_load_dwordx4 a[156:159], v82, s[84:87], 0 offen offset:1024// 0000000038F8: E05C1400 80959C52
	buffer_load_dword v64, s[20:23], 0 offen lds               // 000000003900: E0511000 80050040
	s_add_u32 m0, 0x100, s48                                   // 000000003908: 807C30FF 00000100
	v_mfma_f32_16x16x32_fp8_fp8 v[88:91], a[148:149], a[12:13], v[88:91]// 000000003910: D3F30058 1D621994
	v_mfma_f32_16x16x32_fp8_fp8 v[88:91], a[150:151], a[14:15], v[88:91]// 000000003918: D3F30058 1D621D96
	buffer_load_dword v65, s[20:23], 0 offen lds               // 000000003920: E0511000 80050041
	s_add_u32 m0, 0x200, s48                                   // 000000003928: 807C30FF 00000200
	v_mfma_f32_16x16x32_fp8_fp8 v[92:95], a[144:145], a[16:17], v[92:95]// 000000003930: D3F3005C 1D722190
	v_mfma_f32_16x16x32_fp8_fp8 v[92:95], a[146:147], a[18:19], v[92:95]// 000000003938: D3F3005C 1D722592
	buffer_load_dword v66, s[20:23], 0 offen lds               // 000000003940: E0511000 80050042
	s_add_u32 m0, 0x300, s48                                   // 000000003948: 807C30FF 00000300
	v_mfma_f32_16x16x32_fp8_fp8 v[92:95], a[148:149], a[20:21], v[92:95]// 000000003950: D3F3005C 1D722994
	v_mfma_f32_16x16x32_fp8_fp8 v[92:95], a[150:151], a[22:23], v[92:95]// 000000003958: D3F3005C 1D722D96
	buffer_load_dword v67, s[20:23], 0 offen lds               // 000000003960: E0511000 80050043
	s_add_u32 m0, 0x400, s48                                   // 000000003968: 807C30FF 00000400
	v_mfma_f32_16x16x32_fp8_fp8 v[96:99], a[144:145], a[24:25], v[96:99]// 000000003970: D3F30060 1D823190
	v_mfma_f32_16x16x32_fp8_fp8 v[96:99], a[146:147], a[26:27], v[96:99]// 000000003978: D3F30060 1D823592
	buffer_load_dword v68, s[20:23], 0 offen lds               // 000000003980: E0511000 80050044
	s_add_u32 m0, 0x500, s48                                   // 000000003988: 807C30FF 00000500
	v_mfma_f32_16x16x32_fp8_fp8 v[96:99], a[148:149], a[28:29], v[96:99]// 000000003990: D3F30060 1D823994
	v_mfma_f32_16x16x32_fp8_fp8 v[96:99], a[150:151], a[30:31], v[96:99]// 000000003998: D3F30060 1D823D96
	buffer_load_dword v69, s[20:23], 0 offen lds               // 0000000039A0: E0511000 80050045
	s_add_u32 m0, 0x600, s48                                   // 0000000039A8: 807C30FF 00000600
	v_mfma_f32_16x16x32_fp8_fp8 v[100:103], a[144:145], a[32:33], v[100:103]// 0000000039B0: D3F30064 1D924190
	v_mfma_f32_16x16x32_fp8_fp8 v[100:103], a[146:147], a[34:35], v[100:103]// 0000000039B8: D3F30064 1D924592
	buffer_load_dword v70, s[20:23], 0 offen lds               // 0000000039C0: E0511000 80050046
	s_add_u32 m0, 0x700, s48                                   // 0000000039C8: 807C30FF 00000700
	v_mfma_f32_16x16x32_fp8_fp8 v[100:103], a[148:149], a[36:37], v[100:103]// 0000000039D0: D3F30064 1D924994
	v_mfma_f32_16x16x32_fp8_fp8 v[100:103], a[150:151], a[38:39], v[100:103]// 0000000039D8: D3F30064 1D924D96
	buffer_load_dword v71, s[20:23], 0 offen lds               // 0000000039E0: E0511000 80050047
	s_add_u32 m0, 0x800, s48                                   // 0000000039E8: 807C30FF 00000800
	v_mfma_f32_16x16x32_fp8_fp8 v[104:107], a[144:145], a[40:41], v[104:107]// 0000000039F0: D3F30068 1DA25190
	v_mfma_f32_16x16x32_fp8_fp8 v[104:107], a[146:147], a[42:43], v[104:107]// 0000000039F8: D3F30068 1DA25592
	buffer_load_dword v72, s[20:23], 0 offen lds               // 000000003A00: E0511000 80050048
	s_add_u32 m0, 0x900, s48                                   // 000000003A08: 807C30FF 00000900
	v_mfma_f32_16x16x32_fp8_fp8 v[104:107], a[148:149], a[44:45], v[104:107]// 000000003A10: D3F30068 1DA25994
	v_mfma_f32_16x16x32_fp8_fp8 v[104:107], a[150:151], a[46:47], v[104:107]// 000000003A18: D3F30068 1DA25D96
	buffer_load_dword v73, s[20:23], 0 offen lds               // 000000003A20: E0511000 80050049
	s_add_u32 m0, 0xa00, s48                                   // 000000003A28: 807C30FF 00000A00
	v_mfma_f32_16x16x32_fp8_fp8 v[108:111], a[144:145], a[48:49], v[108:111]// 000000003A30: D3F3006C 1DB26190
	v_mfma_f32_16x16x32_fp8_fp8 v[108:111], a[146:147], a[50:51], v[108:111]// 000000003A38: D3F3006C 1DB26592
	buffer_load_dword v74, s[20:23], 0 offen lds               // 000000003A40: E0511000 8005004A
	s_add_u32 m0, 0xb00, s48                                   // 000000003A48: 807C30FF 00000B00
	v_mfma_f32_16x16x32_fp8_fp8 v[108:111], a[148:149], a[52:53], v[108:111]// 000000003A50: D3F3006C 1DB26994
	v_mfma_f32_16x16x32_fp8_fp8 v[108:111], a[150:151], a[54:55], v[108:111]// 000000003A58: D3F3006C 1DB26D96
	buffer_load_dword v75, s[20:23], 0 offen lds               // 000000003A60: E0511000 8005004B
	s_add_u32 m0, 0xc00, s48                                   // 000000003A68: 807C30FF 00000C00
	v_mfma_f32_16x16x32_fp8_fp8 v[112:115], a[144:145], a[56:57], v[112:115]// 000000003A70: D3F30070 1DC27190
	v_mfma_f32_16x16x32_fp8_fp8 v[112:115], a[146:147], a[58:59], v[112:115]// 000000003A78: D3F30070 1DC27592
	buffer_load_dword v76, s[20:23], 0 offen lds               // 000000003A80: E0511000 8005004C
	s_add_u32 m0, 0xd00, s48                                   // 000000003A88: 807C30FF 00000D00
	v_mfma_f32_16x16x32_fp8_fp8 v[112:115], a[148:149], a[60:61], v[112:115]// 000000003A90: D3F30070 1DC27994
	v_mfma_f32_16x16x32_fp8_fp8 v[112:115], a[150:151], a[62:63], v[112:115]// 000000003A98: D3F30070 1DC27D96
	buffer_load_dword v77, s[20:23], 0 offen lds               // 000000003AA0: E0511000 8005004D
	s_add_u32 m0, 0xe00, s48                                   // 000000003AA8: 807C30FF 00000E00
	v_mfma_f32_16x16x32_fp8_fp8 v[116:119], a[144:145], a[64:65], v[116:119]// 000000003AB0: D3F30074 1DD28190
	v_mfma_f32_16x16x32_fp8_fp8 v[116:119], a[146:147], a[66:67], v[116:119]// 000000003AB8: D3F30074 1DD28592
	buffer_load_dword v78, s[20:23], 0 offen lds               // 000000003AC0: E0511000 8005004E
	s_add_u32 m0, 0xf00, s48                                   // 000000003AC8: 807C30FF 00000F00
	s_add_u32 s60, 0x80, s80                                   // 000000003AD0: 803C50FF 00000080
	s_cmp_lt_u32 s60, s81                                      // 000000003AD8: BF0A513C
	s_cselect_b32 s83, s83, 0                                  // 000000003ADC: 85538053
	v_mfma_f32_16x16x32_fp8_fp8 v[116:119], a[148:149], a[68:69], v[116:119]// 000000003AE0: D3F30074 1DD28994
	v_mfma_f32_16x16x32_fp8_fp8 v[116:119], a[150:151], a[70:71], v[116:119]// 000000003AE8: D3F30074 1DD28D96
	buffer_load_dword v79, s[20:23], 0 offen lds               // 000000003AF0: E0511000 8005004F
	s_add_u32 m0, 0x1000, s48                                  // 000000003AF8: 807C30FF 00001000
	buffer_load_dword v80, s[20:23], 0 offen lds               // 000000003B00: E0511000 80050050
	s_add_u32 m0, 0x1100, s48                                  // 000000003B08: 807C30FF 00001100
	buffer_load_dword v81, s[20:23], 0 offen lds               // 000000003B10: E0511000 80050051
	s_add_u32 m0, 0, s49                                       // 000000003B18: 807C3180
	s_waitcnt vmcnt(18)                                        // 000000003B1C: BF8C4F72
	v_mfma_f32_16x16x32_fp8_fp8 v[120:123], a[152:153], a[0:1], v[120:123]// 000000003B20: D3F30078 1DE20198
	v_mfma_f32_16x16x32_fp8_fp8 v[120:123], a[154:155], a[2:3], v[120:123]// 000000003B28: D3F30078 1DE2059A
	buffer_load_dwordx4 a[144:147], v82, s[24:27], 0 offen     // 000000003B30: E05C1000 80869052
	v_mfma_f32_16x16x32_fp8_fp8 v[120:123], a[156:157], a[4:5], v[120:123]// 000000003B38: D3F30078 1DE2099C
	v_mfma_f32_16x16x32_fp8_fp8 v[120:123], a[158:159], a[6:7], v[120:123]// 000000003B40: D3F30078 1DE20D9E
	ds_read_b128 a[72:75], v2 offset:18560                     // 000000003B48: DBFE4880 48000002
	ds_read_b128 a[76:79], v2 offset:18624                     // 000000003B50: DBFE48C0 4C000002
	v_mfma_f32_16x16x32_fp8_fp8 v[124:127], a[152:153], a[8:9], v[124:127]// 000000003B58: D3F3007C 1DF21198
	v_mfma_f32_16x16x32_fp8_fp8 v[124:127], a[154:155], a[10:11], v[124:127]// 000000003B60: D3F3007C 1DF2159A
	buffer_load_dwordx4 a[148:151], v82, s[24:27], 0 offen offset:1024// 000000003B68: E05C1400 80869452
	v_mfma_f32_16x16x32_fp8_fp8 v[124:127], a[156:157], a[12:13], v[124:127]// 000000003B70: D3F3007C 1DF2199C
	v_mfma_f32_16x16x32_fp8_fp8 v[124:127], a[158:159], a[14:15], v[124:127]// 000000003B78: D3F3007C 1DF21D9E
	ds_read_b128 a[80:83], v2 offset:19072                     // 000000003B80: DBFE4A80 50000002
	ds_read_b128 a[84:87], v2 offset:19136                     // 000000003B88: DBFE4AC0 54000002
	v_mfma_f32_16x16x32_fp8_fp8 v[128:131], a[152:153], a[16:17], v[128:131]// 000000003B90: D3F30080 1E022198
	v_mfma_f32_16x16x32_fp8_fp8 v[128:131], a[154:155], a[18:19], v[128:131]// 000000003B98: D3F30080 1E02259A
	v_mfma_f32_16x16x32_fp8_fp8 v[128:131], a[156:157], a[20:21], v[128:131]// 000000003BA0: D3F30080 1E02299C
	v_mfma_f32_16x16x32_fp8_fp8 v[128:131], a[158:159], a[22:23], v[128:131]// 000000003BA8: D3F30080 1E022D9E
	ds_read_b128 a[88:91], v2 offset:19584                     // 000000003BB0: DBFE4C80 58000002
	ds_read_b128 a[92:95], v2 offset:19648                     // 000000003BB8: DBFE4CC0 5C000002
	v_mfma_f32_16x16x32_fp8_fp8 v[132:135], a[152:153], a[24:25], v[132:135]// 000000003BC0: D3F30084 1E123198
	v_mfma_f32_16x16x32_fp8_fp8 v[132:135], a[154:155], a[26:27], v[132:135]// 000000003BC8: D3F30084 1E12359A
	v_mfma_f32_16x16x32_fp8_fp8 v[132:135], a[156:157], a[28:29], v[132:135]// 000000003BD0: D3F30084 1E12399C
	v_mfma_f32_16x16x32_fp8_fp8 v[132:135], a[158:159], a[30:31], v[132:135]// 000000003BD8: D3F30084 1E123D9E
	ds_read_b128 a[96:99], v2 offset:20096                     // 000000003BE0: DBFE4E80 60000002
	ds_read_b128 a[100:103], v2 offset:20160                   // 000000003BE8: DBFE4EC0 64000002
	v_mfma_f32_16x16x32_fp8_fp8 v[136:139], a[152:153], a[32:33], v[136:139]// 000000003BF0: D3F30088 1E224198
	v_mfma_f32_16x16x32_fp8_fp8 v[136:139], a[154:155], a[34:35], v[136:139]// 000000003BF8: D3F30088 1E22459A
	v_mfma_f32_16x16x32_fp8_fp8 v[136:139], a[156:157], a[36:37], v[136:139]// 000000003C00: D3F30088 1E22499C
	v_mfma_f32_16x16x32_fp8_fp8 v[136:139], a[158:159], a[38:39], v[136:139]// 000000003C08: D3F30088 1E224D9E
	ds_read_b128 a[104:107], v2 offset:20608                   // 000000003C10: DBFE5080 68000002
	ds_read_b128 a[108:111], v2 offset:20672                   // 000000003C18: DBFE50C0 6C000002
	v_mfma_f32_16x16x32_fp8_fp8 v[140:143], a[152:153], a[40:41], v[140:143]// 000000003C20: D3F3008C 1E325198
	v_mfma_f32_16x16x32_fp8_fp8 v[140:143], a[154:155], a[42:43], v[140:143]// 000000003C28: D3F3008C 1E32559A
	v_mfma_f32_16x16x32_fp8_fp8 v[140:143], a[156:157], a[44:45], v[140:143]// 000000003C30: D3F3008C 1E32599C
	v_mfma_f32_16x16x32_fp8_fp8 v[140:143], a[158:159], a[46:47], v[140:143]// 000000003C38: D3F3008C 1E325D9E
	ds_read_b128 a[112:115], v2 offset:21120                   // 000000003C40: DBFE5280 70000002
	ds_read_b128 a[116:119], v2 offset:21184                   // 000000003C48: DBFE52C0 74000002
	v_mfma_f32_16x16x32_fp8_fp8 v[144:147], a[152:153], a[48:49], v[144:147]// 000000003C50: D3F30090 1E426198
	v_mfma_f32_16x16x32_fp8_fp8 v[144:147], a[154:155], a[50:51], v[144:147]// 000000003C58: D3F30090 1E42659A
	v_mfma_f32_16x16x32_fp8_fp8 v[144:147], a[156:157], a[52:53], v[144:147]// 000000003C60: D3F30090 1E42699C
	v_mfma_f32_16x16x32_fp8_fp8 v[144:147], a[158:159], a[54:55], v[144:147]// 000000003C68: D3F30090 1E426D9E
	ds_read_b128 a[120:123], v2 offset:21632                   // 000000003C70: DBFE5480 78000002
	ds_read_b128 a[124:127], v2 offset:21696                   // 000000003C78: DBFE54C0 7C000002
	v_mfma_f32_16x16x32_fp8_fp8 v[148:151], a[152:153], a[56:57], v[148:151]// 000000003C80: D3F30094 1E527198
	v_mfma_f32_16x16x32_fp8_fp8 v[148:151], a[154:155], a[58:59], v[148:151]// 000000003C88: D3F30094 1E52759A
	v_mfma_f32_16x16x32_fp8_fp8 v[148:151], a[156:157], a[60:61], v[148:151]// 000000003C90: D3F30094 1E52799C
	s_add_u32 s60, 0x180, s80                                  // 000000003C98: 803C50FF 00000180
	s_cmp_lt_u32 s60, s81                                      // 000000003CA0: BF0A513C
	s_cselect_b32 s57, s57, 0                                  // 000000003CA4: 85398039
	v_mfma_f32_16x16x32_fp8_fp8 v[148:151], a[158:159], a[62:63], v[148:151]// 000000003CA8: D3F30094 1E527D9E
	ds_read_b128 a[128:131], v2 offset:22144                   // 000000003CB0: DBFE5680 80000002
	ds_read_b128 a[132:135], v2 offset:22208                   // 000000003CB8: DBFE56C0 84000002
	s_add_u32 s60, 0x100, s80                                  // 000000003CC0: 803C50FF 00000100
	s_cmp_lt_u32 s60, s81                                      // 000000003CC8: BF0A513C
	s_cselect_b32 s58, s58, 0                                  // 000000003CCC: 853A803A
	v_mfma_f32_16x16x32_fp8_fp8 v[152:155], a[152:153], a[64:65], v[152:155]// 000000003CD0: D3F30098 1E628198
	s_add_u32 s24, s58, s24                                    // 000000003CD8: 8018183A
	s_addc_u32 s25, 0, s25                                     // 000000003CDC: 82191980
	v_mfma_f32_16x16x32_fp8_fp8 v[152:155], a[154:155], a[66:67], v[152:155]// 000000003CE0: D3F30098 1E62859A
	s_add_u32 s20, s57, s20                                    // 000000003CE8: 80141439
	s_addc_u32 s21, 0, s21                                     // 000000003CEC: 82151580
	v_mfma_f32_16x16x32_fp8_fp8 v[152:155], a[156:157], a[68:69], v[152:155]// 000000003CF0: D3F30098 1E62899C
	s_add_u32 s84, s83, s84                                    // 000000003CF8: 80545453
	s_addc_u32 s85, 0, s85                                     // 000000003CFC: 82555580
	v_mfma_f32_16x16x32_fp8_fp8 v[152:155], a[158:159], a[70:71], v[152:155]// 000000003D00: D3F30098 1E628D9E
	ds_read_b128 a[136:139], v2 offset:22656                   // 000000003D08: DBFE5880 88000002
	ds_read_b128 a[140:143], v2 offset:22720                   // 000000003D10: DBFE58C0 8C000002
	s_addk_i32 s80, 0x80                                       // 000000003D18: B7500080
	s_cmp_lt_i32 s80, s81                                      // 000000003D1C: BF045150
	s_cbranch_scc0 label_05E5                                  // 000000003D20: BF84011C
	s_waitcnt vmcnt(0) lgkmcnt(0)                              // 000000003D24: BF8C0070
	s_barrier                                                  // 000000003D28: BF8A0000
	v_mfma_f32_16x16x32_fp8_fp8 v[84:87], a[144:145], a[72:73], v[84:87]// 000000003D2C: D3F30054 1D529190
	v_mfma_f32_16x16x32_fp8_fp8 v[84:87], a[146:147], a[74:75], v[84:87]// 000000003D34: D3F30054 1D529592
	buffer_load_dwordx4 a[152:155], v82, s[84:87], 0 offen     // 000000003D3C: E05C1000 80959852
	v_mfma_f32_16x16x32_fp8_fp8 v[84:87], a[148:149], a[76:77], v[84:87]// 000000003D44: D3F30054 1D529994
	v_mfma_f32_16x16x32_fp8_fp8 v[84:87], a[150:151], a[78:79], v[84:87]// 000000003D4C: D3F30054 1D529D96
	v_mfma_f32_16x16x32_fp8_fp8 v[88:91], a[144:145], a[80:81], v[88:91]// 000000003D54: D3F30058 1D62A190
	v_mfma_f32_16x16x32_fp8_fp8 v[88:91], a[146:147], a[82:83], v[88:91]// 000000003D5C: D3F30058 1D62A592
	buffer_load_dwordx4 a[156:159], v82, s[84:87], 0 offen offset:1024// 000000003D64: E05C1400 80959C52
	buffer_load_dword v64, s[20:23], 0 offen lds               // 000000003D6C: E0511000 80050040
	s_add_u32 m0, 0x100, s49                                   // 000000003D74: 807C31FF 00000100
	v_mfma_f32_16x16x32_fp8_fp8 v[88:91], a[148:149], a[84:85], v[88:91]// 000000003D7C: D3F30058 1D62A994
	v_mfma_f32_16x16x32_fp8_fp8 v[88:91], a[150:151], a[86:87], v[88:91]// 000000003D84: D3F30058 1D62AD96
	buffer_load_dword v65, s[20:23], 0 offen lds               // 000000003D8C: E0511000 80050041
	s_add_u32 m0, 0x200, s49                                   // 000000003D94: 807C31FF 00000200
	v_mfma_f32_16x16x32_fp8_fp8 v[92:95], a[144:145], a[88:89], v[92:95]// 000000003D9C: D3F3005C 1D72B190
	v_mfma_f32_16x16x32_fp8_fp8 v[92:95], a[146:147], a[90:91], v[92:95]// 000000003DA4: D3F3005C 1D72B592
	buffer_load_dword v66, s[20:23], 0 offen lds               // 000000003DAC: E0511000 80050042
	s_add_u32 m0, 0x300, s49                                   // 000000003DB4: 807C31FF 00000300
	v_mfma_f32_16x16x32_fp8_fp8 v[92:95], a[148:149], a[92:93], v[92:95]// 000000003DBC: D3F3005C 1D72B994
	v_mfma_f32_16x16x32_fp8_fp8 v[92:95], a[150:151], a[94:95], v[92:95]// 000000003DC4: D3F3005C 1D72BD96
	buffer_load_dword v67, s[20:23], 0 offen lds               // 000000003DCC: E0511000 80050043
	s_add_u32 m0, 0x400, s49                                   // 000000003DD4: 807C31FF 00000400
	v_mfma_f32_16x16x32_fp8_fp8 v[96:99], a[144:145], a[96:97], v[96:99]// 000000003DDC: D3F30060 1D82C190
	v_mfma_f32_16x16x32_fp8_fp8 v[96:99], a[146:147], a[98:99], v[96:99]// 000000003DE4: D3F30060 1D82C592
	buffer_load_dword v68, s[20:23], 0 offen lds               // 000000003DEC: E0511000 80050044
	s_add_u32 m0, 0x500, s49                                   // 000000003DF4: 807C31FF 00000500
	v_mfma_f32_16x16x32_fp8_fp8 v[96:99], a[148:149], a[100:101], v[96:99]// 000000003DFC: D3F30060 1D82C994
	v_mfma_f32_16x16x32_fp8_fp8 v[96:99], a[150:151], a[102:103], v[96:99]// 000000003E04: D3F30060 1D82CD96
	buffer_load_dword v69, s[20:23], 0 offen lds               // 000000003E0C: E0511000 80050045
	s_add_u32 m0, 0x600, s49                                   // 000000003E14: 807C31FF 00000600
	v_mfma_f32_16x16x32_fp8_fp8 v[100:103], a[144:145], a[104:105], v[100:103]// 000000003E1C: D3F30064 1D92D190
	v_mfma_f32_16x16x32_fp8_fp8 v[100:103], a[146:147], a[106:107], v[100:103]// 000000003E24: D3F30064 1D92D592
	buffer_load_dword v70, s[20:23], 0 offen lds               // 000000003E2C: E0511000 80050046
	s_add_u32 m0, 0x700, s49                                   // 000000003E34: 807C31FF 00000700
	v_mfma_f32_16x16x32_fp8_fp8 v[100:103], a[148:149], a[108:109], v[100:103]// 000000003E3C: D3F30064 1D92D994
	v_mfma_f32_16x16x32_fp8_fp8 v[100:103], a[150:151], a[110:111], v[100:103]// 000000003E44: D3F30064 1D92DD96
	buffer_load_dword v71, s[20:23], 0 offen lds               // 000000003E4C: E0511000 80050047
	s_add_u32 m0, 0x800, s49                                   // 000000003E54: 807C31FF 00000800
	v_mfma_f32_16x16x32_fp8_fp8 v[104:107], a[144:145], a[112:113], v[104:107]// 000000003E5C: D3F30068 1DA2E190
	v_mfma_f32_16x16x32_fp8_fp8 v[104:107], a[146:147], a[114:115], v[104:107]// 000000003E64: D3F30068 1DA2E592
	buffer_load_dword v72, s[20:23], 0 offen lds               // 000000003E6C: E0511000 80050048
	s_add_u32 m0, 0x900, s49                                   // 000000003E74: 807C31FF 00000900
	v_mfma_f32_16x16x32_fp8_fp8 v[104:107], a[148:149], a[116:117], v[104:107]// 000000003E7C: D3F30068 1DA2E994
	v_mfma_f32_16x16x32_fp8_fp8 v[104:107], a[150:151], a[118:119], v[104:107]// 000000003E84: D3F30068 1DA2ED96
	buffer_load_dword v73, s[20:23], 0 offen lds               // 000000003E8C: E0511000 80050049
	s_add_u32 m0, 0xa00, s49                                   // 000000003E94: 807C31FF 00000A00
	v_mfma_f32_16x16x32_fp8_fp8 v[108:111], a[144:145], a[120:121], v[108:111]// 000000003E9C: D3F3006C 1DB2F190
	v_mfma_f32_16x16x32_fp8_fp8 v[108:111], a[146:147], a[122:123], v[108:111]// 000000003EA4: D3F3006C 1DB2F592
	buffer_load_dword v74, s[20:23], 0 offen lds               // 000000003EAC: E0511000 8005004A
	s_add_u32 m0, 0xb00, s49                                   // 000000003EB4: 807C31FF 00000B00
	v_mfma_f32_16x16x32_fp8_fp8 v[108:111], a[148:149], a[124:125], v[108:111]// 000000003EBC: D3F3006C 1DB2F994
	v_mfma_f32_16x16x32_fp8_fp8 v[108:111], a[150:151], a[126:127], v[108:111]// 000000003EC4: D3F3006C 1DB2FD96
	buffer_load_dword v75, s[20:23], 0 offen lds               // 000000003ECC: E0511000 8005004B
	s_add_u32 m0, 0xc00, s49                                   // 000000003ED4: 807C31FF 00000C00
	v_mfma_f32_16x16x32_fp8_fp8 v[112:115], a[144:145], a[128:129], v[112:115]// 000000003EDC: D3F30070 1DC30190
	v_mfma_f32_16x16x32_fp8_fp8 v[112:115], a[146:147], a[130:131], v[112:115]// 000000003EE4: D3F30070 1DC30592
	buffer_load_dword v76, s[20:23], 0 offen lds               // 000000003EEC: E0511000 8005004C
	s_add_u32 m0, 0xd00, s49                                   // 000000003EF4: 807C31FF 00000D00
	v_mfma_f32_16x16x32_fp8_fp8 v[112:115], a[148:149], a[132:133], v[112:115]// 000000003EFC: D3F30070 1DC30994
	v_mfma_f32_16x16x32_fp8_fp8 v[112:115], a[150:151], a[134:135], v[112:115]// 000000003F04: D3F30070 1DC30D96
	buffer_load_dword v77, s[20:23], 0 offen lds               // 000000003F0C: E0511000 8005004D
	s_add_u32 m0, 0xe00, s49                                   // 000000003F14: 807C31FF 00000E00
	v_mfma_f32_16x16x32_fp8_fp8 v[116:119], a[144:145], a[136:137], v[116:119]// 000000003F1C: D3F30074 1DD31190
	v_mfma_f32_16x16x32_fp8_fp8 v[116:119], a[146:147], a[138:139], v[116:119]// 000000003F24: D3F30074 1DD31592
	buffer_load_dword v78, s[20:23], 0 offen lds               // 000000003F2C: E0511000 8005004E
	s_add_u32 m0, 0xf00, s49                                   // 000000003F34: 807C31FF 00000F00
	s_add_u32 s60, 0x80, s80                                   // 000000003F3C: 803C50FF 00000080
	s_cmp_lt_u32 s60, s81                                      // 000000003F44: BF0A513C
	s_cselect_b32 s83, s83, 0                                  // 000000003F48: 85538053
	v_mfma_f32_16x16x32_fp8_fp8 v[116:119], a[148:149], a[140:141], v[116:119]// 000000003F4C: D3F30074 1DD31994
	v_mfma_f32_16x16x32_fp8_fp8 v[116:119], a[150:151], a[142:143], v[116:119]// 000000003F54: D3F30074 1DD31D96
	buffer_load_dword v79, s[20:23], 0 offen lds               // 000000003F5C: E0511000 8005004F
	s_add_u32 m0, 0x1000, s49                                  // 000000003F64: 807C31FF 00001000
	buffer_load_dword v80, s[20:23], 0 offen lds               // 000000003F6C: E0511000 80050050
	s_add_u32 m0, 0x1100, s49                                  // 000000003F74: 807C31FF 00001100
	buffer_load_dword v81, s[20:23], 0 offen lds               // 000000003F7C: E0511000 80050051
	s_add_u32 m0, 0, s48                                       // 000000003F84: 807C3080
	s_waitcnt vmcnt(18)                                        // 000000003F88: BF8C4F72
	v_mfma_f32_16x16x32_fp8_fp8 v[120:123], a[152:153], a[72:73], v[120:123]// 000000003F8C: D3F30078 1DE29198
	v_mfma_f32_16x16x32_fp8_fp8 v[120:123], a[154:155], a[74:75], v[120:123]// 000000003F94: D3F30078 1DE2959A
	buffer_load_dwordx4 a[144:147], v82, s[24:27], 0 offen     // 000000003F9C: E05C1000 80869052
	v_mfma_f32_16x16x32_fp8_fp8 v[120:123], a[156:157], a[76:77], v[120:123]// 000000003FA4: D3F30078 1DE2999C
	v_mfma_f32_16x16x32_fp8_fp8 v[120:123], a[158:159], a[78:79], v[120:123]// 000000003FAC: D3F30078 1DE29D9E
	ds_read_b128 a[0:3], v2                                    // 000000003FB4: DBFE0000 00000002
	ds_read_b128 a[4:7], v2 offset:64                          // 000000003FBC: DBFE0040 04000002
	v_mfma_f32_16x16x32_fp8_fp8 v[124:127], a[152:153], a[80:81], v[124:127]// 000000003FC4: D3F3007C 1DF2A198
	v_mfma_f32_16x16x32_fp8_fp8 v[124:127], a[154:155], a[82:83], v[124:127]// 000000003FCC: D3F3007C 1DF2A59A
	buffer_load_dwordx4 a[148:151], v82, s[24:27], 0 offen offset:1024// 000000003FD4: E05C1400 80869452
	v_mfma_f32_16x16x32_fp8_fp8 v[124:127], a[156:157], a[84:85], v[124:127]// 000000003FDC: D3F3007C 1DF2A99C
	v_mfma_f32_16x16x32_fp8_fp8 v[124:127], a[158:159], a[86:87], v[124:127]// 000000003FE4: D3F3007C 1DF2AD9E
	ds_read_b128 a[8:11], v2 offset:512                        // 000000003FEC: DBFE0200 08000002
	ds_read_b128 a[12:15], v2 offset:576                       // 000000003FF4: DBFE0240 0C000002
	v_mfma_f32_16x16x32_fp8_fp8 v[128:131], a[152:153], a[88:89], v[128:131]// 000000003FFC: D3F30080 1E02B198
	v_mfma_f32_16x16x32_fp8_fp8 v[128:131], a[154:155], a[90:91], v[128:131]// 000000004004: D3F30080 1E02B59A
	v_mfma_f32_16x16x32_fp8_fp8 v[128:131], a[156:157], a[92:93], v[128:131]// 00000000400C: D3F30080 1E02B99C
	v_mfma_f32_16x16x32_fp8_fp8 v[128:131], a[158:159], a[94:95], v[128:131]// 000000004014: D3F30080 1E02BD9E
	ds_read_b128 a[16:19], v2 offset:1024                      // 00000000401C: DBFE0400 10000002
	ds_read_b128 a[20:23], v2 offset:1088                      // 000000004024: DBFE0440 14000002
	v_mfma_f32_16x16x32_fp8_fp8 v[132:135], a[152:153], a[96:97], v[132:135]// 00000000402C: D3F30084 1E12C198
	v_mfma_f32_16x16x32_fp8_fp8 v[132:135], a[154:155], a[98:99], v[132:135]// 000000004034: D3F30084 1E12C59A
	v_mfma_f32_16x16x32_fp8_fp8 v[132:135], a[156:157], a[100:101], v[132:135]// 00000000403C: D3F30084 1E12C99C
	v_mfma_f32_16x16x32_fp8_fp8 v[132:135], a[158:159], a[102:103], v[132:135]// 000000004044: D3F30084 1E12CD9E
	ds_read_b128 a[24:27], v2 offset:1536                      // 00000000404C: DBFE0600 18000002
	ds_read_b128 a[28:31], v2 offset:1600                      // 000000004054: DBFE0640 1C000002
	v_mfma_f32_16x16x32_fp8_fp8 v[136:139], a[152:153], a[104:105], v[136:139]// 00000000405C: D3F30088 1E22D198
	v_mfma_f32_16x16x32_fp8_fp8 v[136:139], a[154:155], a[106:107], v[136:139]// 000000004064: D3F30088 1E22D59A
	v_mfma_f32_16x16x32_fp8_fp8 v[136:139], a[156:157], a[108:109], v[136:139]// 00000000406C: D3F30088 1E22D99C
	v_mfma_f32_16x16x32_fp8_fp8 v[136:139], a[158:159], a[110:111], v[136:139]// 000000004074: D3F30088 1E22DD9E
	ds_read_b128 a[32:35], v2 offset:2048                      // 00000000407C: DBFE0800 20000002
	ds_read_b128 a[36:39], v2 offset:2112                      // 000000004084: DBFE0840 24000002
	v_mfma_f32_16x16x32_fp8_fp8 v[140:143], a[152:153], a[112:113], v[140:143]// 00000000408C: D3F3008C 1E32E198
	v_mfma_f32_16x16x32_fp8_fp8 v[140:143], a[154:155], a[114:115], v[140:143]// 000000004094: D3F3008C 1E32E59A
	v_mfma_f32_16x16x32_fp8_fp8 v[140:143], a[156:157], a[116:117], v[140:143]// 00000000409C: D3F3008C 1E32E99C
	v_mfma_f32_16x16x32_fp8_fp8 v[140:143], a[158:159], a[118:119], v[140:143]// 0000000040A4: D3F3008C 1E32ED9E
	ds_read_b128 a[40:43], v2 offset:2560                      // 0000000040AC: DBFE0A00 28000002
	ds_read_b128 a[44:47], v2 offset:2624                      // 0000000040B4: DBFE0A40 2C000002
	v_mfma_f32_16x16x32_fp8_fp8 v[144:147], a[152:153], a[120:121], v[144:147]// 0000000040BC: D3F30090 1E42F198
	v_mfma_f32_16x16x32_fp8_fp8 v[144:147], a[154:155], a[122:123], v[144:147]// 0000000040C4: D3F30090 1E42F59A
	v_mfma_f32_16x16x32_fp8_fp8 v[144:147], a[156:157], a[124:125], v[144:147]// 0000000040CC: D3F30090 1E42F99C
	v_mfma_f32_16x16x32_fp8_fp8 v[144:147], a[158:159], a[126:127], v[144:147]// 0000000040D4: D3F30090 1E42FD9E
	ds_read_b128 a[48:51], v2 offset:3072                      // 0000000040DC: DBFE0C00 30000002
	ds_read_b128 a[52:55], v2 offset:3136                      // 0000000040E4: DBFE0C40 34000002
	v_mfma_f32_16x16x32_fp8_fp8 v[148:151], a[152:153], a[128:129], v[148:151]// 0000000040EC: D3F30094 1E530198
	v_mfma_f32_16x16x32_fp8_fp8 v[148:151], a[154:155], a[130:131], v[148:151]// 0000000040F4: D3F30094 1E53059A
	v_mfma_f32_16x16x32_fp8_fp8 v[148:151], a[156:157], a[132:133], v[148:151]// 0000000040FC: D3F30094 1E53099C
	s_add_u32 s60, 0x180, s80                                  // 000000004104: 803C50FF 00000180
	s_cmp_lt_u32 s60, s81                                      // 00000000410C: BF0A513C
	s_cselect_b32 s57, s57, 0                                  // 000000004110: 85398039
	v_mfma_f32_16x16x32_fp8_fp8 v[148:151], a[158:159], a[134:135], v[148:151]// 000000004114: D3F30094 1E530D9E
	ds_read_b128 a[56:59], v2 offset:3584                      // 00000000411C: DBFE0E00 38000002
	ds_read_b128 a[60:63], v2 offset:3648                      // 000000004124: DBFE0E40 3C000002
	s_add_u32 s60, 0x100, s80                                  // 00000000412C: 803C50FF 00000100
	s_cmp_lt_u32 s60, s81                                      // 000000004134: BF0A513C
	s_cselect_b32 s58, s58, 0                                  // 000000004138: 853A803A
	v_mfma_f32_16x16x32_fp8_fp8 v[152:155], a[152:153], a[136:137], v[152:155]// 00000000413C: D3F30098 1E631198
	s_add_u32 s24, s58, s24                                    // 000000004144: 8018183A
	s_addc_u32 s25, 0, s25                                     // 000000004148: 82191980
	v_mfma_f32_16x16x32_fp8_fp8 v[152:155], a[154:155], a[138:139], v[152:155]// 00000000414C: D3F30098 1E63159A
	s_add_u32 s20, s57, s20                                    // 000000004154: 80141439
	s_addc_u32 s21, 0, s21                                     // 000000004158: 82151580
	v_mfma_f32_16x16x32_fp8_fp8 v[152:155], a[156:157], a[140:141], v[152:155]// 00000000415C: D3F30098 1E63199C
	s_add_u32 s84, s83, s84                                    // 000000004164: 80545453
	s_addc_u32 s85, 0, s85                                     // 000000004168: 82555580
	v_mfma_f32_16x16x32_fp8_fp8 v[152:155], a[158:159], a[142:143], v[152:155]// 00000000416C: D3F30098 1E631D9E
	ds_read_b128 a[64:67], v2 offset:4096                      // 000000004174: DBFE1000 40000002
	ds_read_b128 a[68:71], v2 offset:4160                      // 00000000417C: DBFE1040 44000002
	s_addk_i32 s80, 0x80                                       // 000000004184: B7500080
	s_cmp_lt_i32 s80, s81                                      // 000000004188: BF045150
	s_cbranch_scc0 label_05E5                                  // 00000000418C: BF840001
	s_branch label_03AE                                        // 000000004190: BF82FDC9

0000000000004194 <label_05E5>:
	v_mul_f32_dpp v84, v24, v84 row_newbcast:0 row_mask:0xf bank_mask:0xf// 000000004194: 0AA8A8FA FF015018
	v_mul_f32_dpp v85, v24, v85 row_newbcast:1 row_mask:0xf bank_mask:0xf// 00000000419C: 0AAAAAFA FF015118
	v_mul_f32_dpp v86, v24, v86 row_newbcast:2 row_mask:0xf bank_mask:0xf// 0000000041A4: 0AACACFA FF015218
	v_mul_f32_dpp v87, v24, v87 row_newbcast:3 row_mask:0xf bank_mask:0xf// 0000000041AC: 0AAEAEFA FF015318
	v_mul_f32_dpp v88, v24, v88 row_newbcast:0 row_mask:0xf bank_mask:0xf// 0000000041B4: 0AB0B0FA FF015018
	v_mul_f32_dpp v89, v24, v89 row_newbcast:1 row_mask:0xf bank_mask:0xf// 0000000041BC: 0AB2B2FA FF015118
	v_mul_f32_dpp v90, v24, v90 row_newbcast:2 row_mask:0xf bank_mask:0xf// 0000000041C4: 0AB4B4FA FF015218
	v_mul_f32_dpp v91, v24, v91 row_newbcast:3 row_mask:0xf bank_mask:0xf// 0000000041CC: 0AB6B6FA FF015318
	v_mul_f32_dpp v92, v24, v92 row_newbcast:0 row_mask:0xf bank_mask:0xf// 0000000041D4: 0AB8B8FA FF015018
	v_mul_f32_dpp v93, v24, v93 row_newbcast:1 row_mask:0xf bank_mask:0xf// 0000000041DC: 0ABABAFA FF015118
	v_mul_f32_dpp v94, v24, v94 row_newbcast:2 row_mask:0xf bank_mask:0xf// 0000000041E4: 0ABCBCFA FF015218
	v_mul_f32_dpp v95, v24, v95 row_newbcast:3 row_mask:0xf bank_mask:0xf// 0000000041EC: 0ABEBEFA FF015318
	v_mul_f32_dpp v96, v24, v96 row_newbcast:0 row_mask:0xf bank_mask:0xf// 0000000041F4: 0AC0C0FA FF015018
	v_mul_f32_dpp v97, v24, v97 row_newbcast:1 row_mask:0xf bank_mask:0xf// 0000000041FC: 0AC2C2FA FF015118
	v_mul_f32_dpp v98, v24, v98 row_newbcast:2 row_mask:0xf bank_mask:0xf// 000000004204: 0AC4C4FA FF015218
	v_mul_f32_dpp v99, v24, v99 row_newbcast:3 row_mask:0xf bank_mask:0xf// 00000000420C: 0AC6C6FA FF015318
	v_mul_f32_dpp v100, v24, v100 row_newbcast:0 row_mask:0xf bank_mask:0xf// 000000004214: 0AC8C8FA FF015018
	v_mul_f32_dpp v101, v24, v101 row_newbcast:1 row_mask:0xf bank_mask:0xf// 00000000421C: 0ACACAFA FF015118
	v_mul_f32_dpp v102, v24, v102 row_newbcast:2 row_mask:0xf bank_mask:0xf// 000000004224: 0ACCCCFA FF015218
	v_mul_f32_dpp v103, v24, v103 row_newbcast:3 row_mask:0xf bank_mask:0xf// 00000000422C: 0ACECEFA FF015318
	v_mul_f32_dpp v104, v24, v104 row_newbcast:0 row_mask:0xf bank_mask:0xf// 000000004234: 0AD0D0FA FF015018
	v_mul_f32_dpp v105, v24, v105 row_newbcast:1 row_mask:0xf bank_mask:0xf// 00000000423C: 0AD2D2FA FF015118
	v_mul_f32_dpp v106, v24, v106 row_newbcast:2 row_mask:0xf bank_mask:0xf// 000000004244: 0AD4D4FA FF015218
	v_mul_f32_dpp v107, v24, v107 row_newbcast:3 row_mask:0xf bank_mask:0xf// 00000000424C: 0AD6D6FA FF015318
	v_mul_f32_dpp v108, v24, v108 row_newbcast:0 row_mask:0xf bank_mask:0xf// 000000004254: 0AD8D8FA FF015018
	v_mul_f32_dpp v109, v24, v109 row_newbcast:1 row_mask:0xf bank_mask:0xf// 00000000425C: 0ADADAFA FF015118
	v_mul_f32_dpp v110, v24, v110 row_newbcast:2 row_mask:0xf bank_mask:0xf// 000000004264: 0ADCDCFA FF015218
	v_mul_f32_dpp v111, v24, v111 row_newbcast:3 row_mask:0xf bank_mask:0xf// 00000000426C: 0ADEDEFA FF015318
	v_mul_f32_dpp v112, v24, v112 row_newbcast:0 row_mask:0xf bank_mask:0xf// 000000004274: 0AE0E0FA FF015018
	v_mul_f32_dpp v113, v24, v113 row_newbcast:1 row_mask:0xf bank_mask:0xf// 00000000427C: 0AE2E2FA FF015118
	v_mul_f32_dpp v114, v24, v114 row_newbcast:2 row_mask:0xf bank_mask:0xf// 000000004284: 0AE4E4FA FF015218
	v_mul_f32_dpp v115, v24, v115 row_newbcast:3 row_mask:0xf bank_mask:0xf// 00000000428C: 0AE6E6FA FF015318
	v_mul_f32_dpp v116, v24, v116 row_newbcast:0 row_mask:0xf bank_mask:0xf// 000000004294: 0AE8E8FA FF015018
	v_mul_f32_dpp v117, v24, v117 row_newbcast:1 row_mask:0xf bank_mask:0xf// 00000000429C: 0AEAEAFA FF015118
	v_mul_f32_dpp v118, v24, v118 row_newbcast:2 row_mask:0xf bank_mask:0xf// 0000000042A4: 0AECECFA FF015218
	v_mul_f32_dpp v119, v24, v119 row_newbcast:3 row_mask:0xf bank_mask:0xf// 0000000042AC: 0AEEEEFA FF015318
	v_mul_f32_dpp v120, v26, v120 row_newbcast:0 row_mask:0xf bank_mask:0xf// 0000000042B4: 0AF0F0FA FF01501A
	v_mul_f32_dpp v121, v26, v121 row_newbcast:1 row_mask:0xf bank_mask:0xf// 0000000042BC: 0AF2F2FA FF01511A
	v_mul_f32_dpp v122, v26, v122 row_newbcast:2 row_mask:0xf bank_mask:0xf// 0000000042C4: 0AF4F4FA FF01521A
	v_mul_f32_dpp v123, v26, v123 row_newbcast:3 row_mask:0xf bank_mask:0xf// 0000000042CC: 0AF6F6FA FF01531A
	v_mul_f32_dpp v124, v26, v124 row_newbcast:0 row_mask:0xf bank_mask:0xf// 0000000042D4: 0AF8F8FA FF01501A
	v_mul_f32_dpp v125, v26, v125 row_newbcast:1 row_mask:0xf bank_mask:0xf// 0000000042DC: 0AFAFAFA FF01511A
	v_mul_f32_dpp v126, v26, v126 row_newbcast:2 row_mask:0xf bank_mask:0xf// 0000000042E4: 0AFCFCFA FF01521A
	v_mul_f32_dpp v127, v26, v127 row_newbcast:3 row_mask:0xf bank_mask:0xf// 0000000042EC: 0AFEFEFA FF01531A
	v_mul_f32_dpp v128, v26, v128 row_newbcast:0 row_mask:0xf bank_mask:0xf// 0000000042F4: 0B0100FA FF01501A
	v_mul_f32_dpp v129, v26, v129 row_newbcast:1 row_mask:0xf bank_mask:0xf// 0000000042FC: 0B0302FA FF01511A
	v_mul_f32_dpp v130, v26, v130 row_newbcast:2 row_mask:0xf bank_mask:0xf// 000000004304: 0B0504FA FF01521A
	v_mul_f32_dpp v131, v26, v131 row_newbcast:3 row_mask:0xf bank_mask:0xf// 00000000430C: 0B0706FA FF01531A
	v_mul_f32_dpp v132, v26, v132 row_newbcast:0 row_mask:0xf bank_mask:0xf// 000000004314: 0B0908FA FF01501A
	v_mul_f32_dpp v133, v26, v133 row_newbcast:1 row_mask:0xf bank_mask:0xf// 00000000431C: 0B0B0AFA FF01511A
	v_mul_f32_dpp v134, v26, v134 row_newbcast:2 row_mask:0xf bank_mask:0xf// 000000004324: 0B0D0CFA FF01521A
	v_mul_f32_dpp v135, v26, v135 row_newbcast:3 row_mask:0xf bank_mask:0xf// 00000000432C: 0B0F0EFA FF01531A
	v_mul_f32_dpp v136, v26, v136 row_newbcast:0 row_mask:0xf bank_mask:0xf// 000000004334: 0B1110FA FF01501A
	v_mul_f32_dpp v137, v26, v137 row_newbcast:1 row_mask:0xf bank_mask:0xf// 00000000433C: 0B1312FA FF01511A
	v_mul_f32_dpp v138, v26, v138 row_newbcast:2 row_mask:0xf bank_mask:0xf// 000000004344: 0B1514FA FF01521A
	v_mul_f32_dpp v139, v26, v139 row_newbcast:3 row_mask:0xf bank_mask:0xf// 00000000434C: 0B1716FA FF01531A
	v_mul_f32_dpp v140, v26, v140 row_newbcast:0 row_mask:0xf bank_mask:0xf// 000000004354: 0B1918FA FF01501A
	v_mul_f32_dpp v141, v26, v141 row_newbcast:1 row_mask:0xf bank_mask:0xf// 00000000435C: 0B1B1AFA FF01511A
	v_mul_f32_dpp v142, v26, v142 row_newbcast:2 row_mask:0xf bank_mask:0xf// 000000004364: 0B1D1CFA FF01521A
	v_mul_f32_dpp v143, v26, v143 row_newbcast:3 row_mask:0xf bank_mask:0xf// 00000000436C: 0B1F1EFA FF01531A
	v_mul_f32_dpp v144, v26, v144 row_newbcast:0 row_mask:0xf bank_mask:0xf// 000000004374: 0B2120FA FF01501A
	v_mul_f32_dpp v145, v26, v145 row_newbcast:1 row_mask:0xf bank_mask:0xf// 00000000437C: 0B2322FA FF01511A
	v_mul_f32_dpp v146, v26, v146 row_newbcast:2 row_mask:0xf bank_mask:0xf// 000000004384: 0B2524FA FF01521A
	v_mul_f32_dpp v147, v26, v147 row_newbcast:3 row_mask:0xf bank_mask:0xf// 00000000438C: 0B2726FA FF01531A
	v_mul_f32_dpp v148, v26, v148 row_newbcast:0 row_mask:0xf bank_mask:0xf// 000000004394: 0B2928FA FF01501A
	v_mul_f32_dpp v149, v26, v149 row_newbcast:1 row_mask:0xf bank_mask:0xf// 00000000439C: 0B2B2AFA FF01511A
	v_mul_f32_dpp v150, v26, v150 row_newbcast:2 row_mask:0xf bank_mask:0xf// 0000000043A4: 0B2D2CFA FF01521A
	v_mul_f32_dpp v151, v26, v151 row_newbcast:3 row_mask:0xf bank_mask:0xf// 0000000043AC: 0B2F2EFA FF01531A
	v_mul_f32_dpp v152, v26, v152 row_newbcast:0 row_mask:0xf bank_mask:0xf// 0000000043B4: 0B3130FA FF01501A
	v_mul_f32_dpp v153, v26, v153 row_newbcast:1 row_mask:0xf bank_mask:0xf// 0000000043BC: 0B3332FA FF01511A
	v_mul_f32_dpp v154, v26, v154 row_newbcast:2 row_mask:0xf bank_mask:0xf// 0000000043C4: 0B3534FA FF01521A
	v_mul_f32_dpp v155, v26, v155 row_newbcast:3 row_mask:0xf bank_mask:0xf// 0000000043CC: 0B3736FA FF01531A
	v_mul_f32_e32 v37, v37, v156                               // 0000000043D4: 0A4B3925
	v_mov_b32_e32 v4, v37                                      // 0000000043D8: 7E080325
	v_mov_b32_e32 v5, v4                                       // 0000000043DC: 7E0A0304
	v_pk_mul_f32 v[84:85], v[4:5], v[84:85]                    // 0000000043E0: D3B14054 1802A904
	v_pk_mul_f32 v[120:121], v[4:5], v[120:121]                // 0000000043E8: D3B14078 1802F104
	v_pk_mul_f32 v[86:87], v[4:5], v[86:87]                    // 0000000043F0: D3B14056 1802AD04
	v_pk_mul_f32 v[122:123], v[4:5], v[122:123]                // 0000000043F8: D3B1407A 1802F504
	v_mul_f32_e32 v38, v38, v157                               // 000000004400: 0A4D3B26
	v_mov_b32_e32 v4, v38                                      // 000000004404: 7E080326
	v_mov_b32_e32 v5, v4                                       // 000000004408: 7E0A0304
	v_pk_mul_f32 v[88:89], v[4:5], v[88:89]                    // 00000000440C: D3B14058 1802B104
	v_pk_mul_f32 v[124:125], v[4:5], v[124:125]                // 000000004414: D3B1407C 1802F904
	v_pk_mul_f32 v[90:91], v[4:5], v[90:91]                    // 00000000441C: D3B1405A 1802B504
	v_pk_mul_f32 v[126:127], v[4:5], v[126:127]                // 000000004424: D3B1407E 1802FD04
	v_mul_f32_e32 v39, v39, v158                               // 00000000442C: 0A4F3D27
	v_mov_b32_e32 v4, v39                                      // 000000004430: 7E080327
	v_mov_b32_e32 v5, v4                                       // 000000004434: 7E0A0304
	v_pk_mul_f32 v[92:93], v[4:5], v[92:93]                    // 000000004438: D3B1405C 1802B904
	v_pk_mul_f32 v[128:129], v[4:5], v[128:129]                // 000000004440: D3B14080 18030104
	v_pk_mul_f32 v[94:95], v[4:5], v[94:95]                    // 000000004448: D3B1405E 1802BD04
	v_pk_mul_f32 v[130:131], v[4:5], v[130:131]                // 000000004450: D3B14082 18030504
	v_mul_f32_e32 v40, v40, v159                               // 000000004458: 0A513F28
	v_mov_b32_e32 v4, v40                                      // 00000000445C: 7E080328
	v_mov_b32_e32 v5, v4                                       // 000000004460: 7E0A0304
	v_pk_mul_f32 v[96:97], v[4:5], v[96:97]                    // 000000004464: D3B14060 1802C104
	v_pk_mul_f32 v[132:133], v[4:5], v[132:133]                // 00000000446C: D3B14084 18030904
	v_pk_mul_f32 v[98:99], v[4:5], v[98:99]                    // 000000004474: D3B14062 1802C504
	v_pk_mul_f32 v[134:135], v[4:5], v[134:135]                // 00000000447C: D3B14086 18030D04
	v_mul_f32_e32 v41, v41, v160                               // 000000004484: 0A534129
	v_mov_b32_e32 v4, v41                                      // 000000004488: 7E080329
	v_mov_b32_e32 v5, v4                                       // 00000000448C: 7E0A0304
	v_pk_mul_f32 v[100:101], v[4:5], v[100:101]                // 000000004490: D3B14064 1802C904
	v_pk_mul_f32 v[136:137], v[4:5], v[136:137]                // 000000004498: D3B14088 18031104
	v_pk_mul_f32 v[102:103], v[4:5], v[102:103]                // 0000000044A0: D3B14066 1802CD04
	v_pk_mul_f32 v[138:139], v[4:5], v[138:139]                // 0000000044A8: D3B1408A 18031504
	v_mul_f32_e32 v42, v42, v161                               // 0000000044B0: 0A55432A
	v_mov_b32_e32 v4, v42                                      // 0000000044B4: 7E08032A
	v_mov_b32_e32 v5, v4                                       // 0000000044B8: 7E0A0304
	v_pk_mul_f32 v[104:105], v[4:5], v[104:105]                // 0000000044BC: D3B14068 1802D104
	v_pk_mul_f32 v[140:141], v[4:5], v[140:141]                // 0000000044C4: D3B1408C 18031904
	v_pk_mul_f32 v[106:107], v[4:5], v[106:107]                // 0000000044CC: D3B1406A 1802D504
	v_pk_mul_f32 v[142:143], v[4:5], v[142:143]                // 0000000044D4: D3B1408E 18031D04
	v_mul_f32_e32 v43, v43, v162                               // 0000000044DC: 0A57452B
	v_mov_b32_e32 v4, v43                                      // 0000000044E0: 7E08032B
	v_mov_b32_e32 v5, v4                                       // 0000000044E4: 7E0A0304
	v_pk_mul_f32 v[108:109], v[4:5], v[108:109]                // 0000000044E8: D3B1406C 1802D904
	v_pk_mul_f32 v[144:145], v[4:5], v[144:145]                // 0000000044F0: D3B14090 18032104
	v_pk_mul_f32 v[110:111], v[4:5], v[110:111]                // 0000000044F8: D3B1406E 1802DD04
	v_pk_mul_f32 v[146:147], v[4:5], v[146:147]                // 000000004500: D3B14092 18032504
	v_mul_f32_e32 v44, v44, v163                               // 000000004508: 0A59472C
	v_mov_b32_e32 v4, v44                                      // 00000000450C: 7E08032C
	v_mov_b32_e32 v5, v4                                       // 000000004510: 7E0A0304
	v_pk_mul_f32 v[112:113], v[4:5], v[112:113]                // 000000004514: D3B14070 1802E104
	v_pk_mul_f32 v[148:149], v[4:5], v[148:149]                // 00000000451C: D3B14094 18032904
	v_pk_mul_f32 v[114:115], v[4:5], v[114:115]                // 000000004524: D3B14072 1802E504
	v_pk_mul_f32 v[150:151], v[4:5], v[150:151]                // 00000000452C: D3B14096 18032D04
	v_mul_f32_e32 v45, v45, v164                               // 000000004534: 0A5B492D
	v_mov_b32_e32 v4, v45                                      // 000000004538: 7E08032D
	v_mov_b32_e32 v5, v4                                       // 00000000453C: 7E0A0304
	v_pk_mul_f32 v[116:117], v[4:5], v[116:117]                // 000000004540: D3B14074 1802E904
	v_pk_mul_f32 v[152:153], v[4:5], v[152:153]                // 000000004548: D3B14098 18033104
	v_pk_mul_f32 v[118:119], v[4:5], v[118:119]                // 000000004550: D3B14076 1802ED04
	v_pk_mul_f32 v[154:155], v[4:5], v[154:155]                // 000000004558: D3B1409A 18033504
	s_cmp_eq_u32 s88, 0                                        // 000000004560: BF068058
	s_cbranch_scc0 label_0D85                                  // 000000004564: BF8406AB
	s_cmp_eq_u32 s89, 0                                        // 000000004568: BF068059
	s_cbranch_scc1 label_0849                                  // 00000000456C: BF85016D
	v_mov_b32_e32 v8, v1                                       // 000000004570: 7E100301
	v_mov_b32_e32 v9, v1                                       // 000000004574: 7E120301
	s_mov_b32 s60, s6                                          // 000000004578: BEBC0006
	s_mov_b32 s61, s6                                          // 00000000457C: BEBD0006
	v_pk_mul_f32 v[4:5], v[84:85], v[84:85]                    // 000000004580: D3B14004 1802A954
	v_pk_mul_f32 v[6:7], v[86:87], v[86:87]                    // 000000004588: D3B14006 1802AD56
	v_pk_fma_f32 v[4:5], v[4:5], s[78:79], v[8:9]              // 000000004590: D3B04004 1C209D04
	v_pk_fma_f32 v[6:7], v[6:7], s[78:79], v[8:9]              // 000000004598: D3B04006 1C209D06
	v_pk_mul_f32 v[4:5], v[4:5], v[84:85]                      // 0000000045A0: D3B14004 1802A904
	v_pk_mul_f32 v[6:7], v[6:7], v[86:87]                      // 0000000045A8: D3B14006 1802AD06
	v_pk_mul_f32 v[4:5], v[4:5], s[60:61]                      // 0000000045B0: D3B14004 18007904
	v_pk_mul_f32 v[6:7], v[6:7], s[60:61]                      // 0000000045B8: D3B14006 18007906
	v_exp_f32_e32 v4, v4                                       // 0000000045C0: 7E084104
	v_exp_f32_e32 v5, v5                                       // 0000000045C4: 7E0A4105
	v_exp_f32_e32 v6, v6                                       // 0000000045C8: 7E0C4106
	v_exp_f32_e32 v7, v7                                       // 0000000045CC: 7E0E4107
	v_add_f32_e64 v4, v4, 1.0                                  // 0000000045D0: D1010004 0001E504
	v_add_f32_e64 v5, v5, 1.0                                  // 0000000045D8: D1010005 0001E505
	v_add_f32_e64 v6, v6, 1.0                                  // 0000000045E0: D1010006 0001E506
	v_add_f32_e64 v7, v7, 1.0                                  // 0000000045E8: D1010007 0001E507
	v_rcp_f32_e32 v4, v4                                       // 0000000045F0: 7E084504
	v_rcp_f32_e32 v5, v5                                       // 0000000045F4: 7E0A4505
	v_rcp_f32_e32 v6, v6                                       // 0000000045F8: 7E0C4506
	v_rcp_f32_e32 v7, v7                                       // 0000000045FC: 7E0E4507
	v_mul_f32_e32 v84, v84, v4                                 // 000000004600: 0AA80954
	v_mul_f32_e32 v85, v85, v5                                 // 000000004604: 0AAA0B55
	v_mul_f32_e32 v86, v86, v6                                 // 000000004608: 0AAC0D56
	v_mul_f32_e32 v87, v87, v7                                 // 00000000460C: 0AAE0F57
	v_mul_f32_e32 v84, v84, v120                               // 000000004610: 0AA8F154
	v_mul_f32_e32 v85, v85, v121                               // 000000004614: 0AAAF355
	v_mul_f32_e32 v86, v86, v122                               // 000000004618: 0AACF556
	v_mul_f32_e32 v87, v87, v123                               // 00000000461C: 0AAEF757
	v_pk_mul_f32 v[4:5], v[88:89], v[88:89]                    // 000000004620: D3B14004 1802B158
	v_pk_mul_f32 v[6:7], v[90:91], v[90:91]                    // 000000004628: D3B14006 1802B55A
	v_pk_fma_f32 v[4:5], v[4:5], s[78:79], v[8:9]              // 000000004630: D3B04004 1C209D04
	v_pk_fma_f32 v[6:7], v[6:7], s[78:79], v[8:9]              // 000000004638: D3B04006 1C209D06
	v_pk_mul_f32 v[4:5], v[4:5], v[88:89]                      // 000000004640: D3B14004 1802B104
	v_pk_mul_f32 v[6:7], v[6:7], v[90:91]                      // 000000004648: D3B14006 1802B506
	v_pk_mul_f32 v[4:5], v[4:5], s[60:61]                      // 000000004650: D3B14004 18007904
	v_pk_mul_f32 v[6:7], v[6:7], s[60:61]                      // 000000004658: D3B14006 18007906
	v_exp_f32_e32 v4, v4                                       // 000000004660: 7E084104
	v_exp_f32_e32 v5, v5                                       // 000000004664: 7E0A4105
	v_exp_f32_e32 v6, v6                                       // 000000004668: 7E0C4106
	v_exp_f32_e32 v7, v7                                       // 00000000466C: 7E0E4107
	v_add_f32_e64 v4, v4, 1.0                                  // 000000004670: D1010004 0001E504
	v_add_f32_e64 v5, v5, 1.0                                  // 000000004678: D1010005 0001E505
	v_add_f32_e64 v6, v6, 1.0                                  // 000000004680: D1010006 0001E506
	v_add_f32_e64 v7, v7, 1.0                                  // 000000004688: D1010007 0001E507
	v_rcp_f32_e32 v4, v4                                       // 000000004690: 7E084504
	v_rcp_f32_e32 v5, v5                                       // 000000004694: 7E0A4505
	v_rcp_f32_e32 v6, v6                                       // 000000004698: 7E0C4506
	v_rcp_f32_e32 v7, v7                                       // 00000000469C: 7E0E4507
	v_mul_f32_e32 v88, v88, v4                                 // 0000000046A0: 0AB00958
	v_mul_f32_e32 v89, v89, v5                                 // 0000000046A4: 0AB20B59
	v_mul_f32_e32 v90, v90, v6                                 // 0000000046A8: 0AB40D5A
	v_mul_f32_e32 v91, v91, v7                                 // 0000000046AC: 0AB60F5B
	v_mul_f32_e32 v88, v88, v124                               // 0000000046B0: 0AB0F958
	v_mul_f32_e32 v89, v89, v125                               // 0000000046B4: 0AB2FB59
	v_mul_f32_e32 v90, v90, v126                               // 0000000046B8: 0AB4FD5A
	v_mul_f32_e32 v91, v91, v127                               // 0000000046BC: 0AB6FF5B
	v_pk_mul_f32 v[4:5], v[92:93], v[92:93]                    // 0000000046C0: D3B14004 1802B95C
	v_pk_mul_f32 v[6:7], v[94:95], v[94:95]                    // 0000000046C8: D3B14006 1802BD5E
	v_pk_fma_f32 v[4:5], v[4:5], s[78:79], v[8:9]              // 0000000046D0: D3B04004 1C209D04
	v_pk_fma_f32 v[6:7], v[6:7], s[78:79], v[8:9]              // 0000000046D8: D3B04006 1C209D06
	v_pk_mul_f32 v[4:5], v[4:5], v[92:93]                      // 0000000046E0: D3B14004 1802B904
	v_pk_mul_f32 v[6:7], v[6:7], v[94:95]                      // 0000000046E8: D3B14006 1802BD06
	v_pk_mul_f32 v[4:5], v[4:5], s[60:61]                      // 0000000046F0: D3B14004 18007904
	v_pk_mul_f32 v[6:7], v[6:7], s[60:61]                      // 0000000046F8: D3B14006 18007906
	v_exp_f32_e32 v4, v4                                       // 000000004700: 7E084104
	v_exp_f32_e32 v5, v5                                       // 000000004704: 7E0A4105
	v_exp_f32_e32 v6, v6                                       // 000000004708: 7E0C4106
	v_exp_f32_e32 v7, v7                                       // 00000000470C: 7E0E4107
	v_add_f32_e64 v4, v4, 1.0                                  // 000000004710: D1010004 0001E504
	v_add_f32_e64 v5, v5, 1.0                                  // 000000004718: D1010005 0001E505
	v_add_f32_e64 v6, v6, 1.0                                  // 000000004720: D1010006 0001E506
	v_add_f32_e64 v7, v7, 1.0                                  // 000000004728: D1010007 0001E507
	v_rcp_f32_e32 v4, v4                                       // 000000004730: 7E084504
	v_rcp_f32_e32 v5, v5                                       // 000000004734: 7E0A4505
	v_rcp_f32_e32 v6, v6                                       // 000000004738: 7E0C4506
	v_rcp_f32_e32 v7, v7                                       // 00000000473C: 7E0E4507
	v_mul_f32_e32 v92, v92, v4                                 // 000000004740: 0AB8095C
	v_mul_f32_e32 v93, v93, v5                                 // 000000004744: 0ABA0B5D
	v_mul_f32_e32 v94, v94, v6                                 // 000000004748: 0ABC0D5E
	v_mul_f32_e32 v95, v95, v7                                 // 00000000474C: 0ABE0F5F
	v_mul_f32_e32 v92, v92, v128                               // 000000004750: 0AB9015C
	v_mul_f32_e32 v93, v93, v129                               // 000000004754: 0ABB035D
	v_mul_f32_e32 v94, v94, v130                               // 000000004758: 0ABD055E
	v_mul_f32_e32 v95, v95, v131                               // 00000000475C: 0ABF075F
	v_pk_mul_f32 v[4:5], v[96:97], v[96:97]                    // 000000004760: D3B14004 1802C160
	v_pk_mul_f32 v[6:7], v[98:99], v[98:99]                    // 000000004768: D3B14006 1802C562
	v_pk_fma_f32 v[4:5], v[4:5], s[78:79], v[8:9]              // 000000004770: D3B04004 1C209D04
	v_pk_fma_f32 v[6:7], v[6:7], s[78:79], v[8:9]              // 000000004778: D3B04006 1C209D06
	v_pk_mul_f32 v[4:5], v[4:5], v[96:97]                      // 000000004780: D3B14004 1802C104
	v_pk_mul_f32 v[6:7], v[6:7], v[98:99]                      // 000000004788: D3B14006 1802C506
	v_pk_mul_f32 v[4:5], v[4:5], s[60:61]                      // 000000004790: D3B14004 18007904
	v_pk_mul_f32 v[6:7], v[6:7], s[60:61]                      // 000000004798: D3B14006 18007906
	v_exp_f32_e32 v4, v4                                       // 0000000047A0: 7E084104
	v_exp_f32_e32 v5, v5                                       // 0000000047A4: 7E0A4105
	v_exp_f32_e32 v6, v6                                       // 0000000047A8: 7E0C4106
	v_exp_f32_e32 v7, v7                                       // 0000000047AC: 7E0E4107
	v_add_f32_e64 v4, v4, 1.0                                  // 0000000047B0: D1010004 0001E504
	v_add_f32_e64 v5, v5, 1.0                                  // 0000000047B8: D1010005 0001E505
	v_add_f32_e64 v6, v6, 1.0                                  // 0000000047C0: D1010006 0001E506
	v_add_f32_e64 v7, v7, 1.0                                  // 0000000047C8: D1010007 0001E507
	v_rcp_f32_e32 v4, v4                                       // 0000000047D0: 7E084504
	v_rcp_f32_e32 v5, v5                                       // 0000000047D4: 7E0A4505
	v_rcp_f32_e32 v6, v6                                       // 0000000047D8: 7E0C4506
	v_rcp_f32_e32 v7, v7                                       // 0000000047DC: 7E0E4507
	v_mul_f32_e32 v96, v96, v4                                 // 0000000047E0: 0AC00960
	v_mul_f32_e32 v97, v97, v5                                 // 0000000047E4: 0AC20B61
	v_mul_f32_e32 v98, v98, v6                                 // 0000000047E8: 0AC40D62
	v_mul_f32_e32 v99, v99, v7                                 // 0000000047EC: 0AC60F63
	v_mul_f32_e32 v96, v96, v132                               // 0000000047F0: 0AC10960
	v_mul_f32_e32 v97, v97, v133                               // 0000000047F4: 0AC30B61
	v_mul_f32_e32 v98, v98, v134                               // 0000000047F8: 0AC50D62
	v_mul_f32_e32 v99, v99, v135                               // 0000000047FC: 0AC70F63
	v_pk_mul_f32 v[4:5], v[100:101], v[100:101]                // 000000004800: D3B14004 1802C964
	v_pk_mul_f32 v[6:7], v[102:103], v[102:103]                // 000000004808: D3B14006 1802CD66
	v_pk_fma_f32 v[4:5], v[4:5], s[78:79], v[8:9]              // 000000004810: D3B04004 1C209D04
	v_pk_fma_f32 v[6:7], v[6:7], s[78:79], v[8:9]              // 000000004818: D3B04006 1C209D06
	v_pk_mul_f32 v[4:5], v[4:5], v[100:101]                    // 000000004820: D3B14004 1802C904
	v_pk_mul_f32 v[6:7], v[6:7], v[102:103]                    // 000000004828: D3B14006 1802CD06
	v_pk_mul_f32 v[4:5], v[4:5], s[60:61]                      // 000000004830: D3B14004 18007904
	v_pk_mul_f32 v[6:7], v[6:7], s[60:61]                      // 000000004838: D3B14006 18007906
	v_exp_f32_e32 v4, v4                                       // 000000004840: 7E084104
	v_exp_f32_e32 v5, v5                                       // 000000004844: 7E0A4105
	v_exp_f32_e32 v6, v6                                       // 000000004848: 7E0C4106
	v_exp_f32_e32 v7, v7                                       // 00000000484C: 7E0E4107
	v_add_f32_e64 v4, v4, 1.0                                  // 000000004850: D1010004 0001E504
	v_add_f32_e64 v5, v5, 1.0                                  // 000000004858: D1010005 0001E505
	v_add_f32_e64 v6, v6, 1.0                                  // 000000004860: D1010006 0001E506
	v_add_f32_e64 v7, v7, 1.0                                  // 000000004868: D1010007 0001E507
	v_rcp_f32_e32 v4, v4                                       // 000000004870: 7E084504
	v_rcp_f32_e32 v5, v5                                       // 000000004874: 7E0A4505
	v_rcp_f32_e32 v6, v6                                       // 000000004878: 7E0C4506
	v_rcp_f32_e32 v7, v7                                       // 00000000487C: 7E0E4507
	v_mul_f32_e32 v100, v100, v4                               // 000000004880: 0AC80964
	v_mul_f32_e32 v101, v101, v5                               // 000000004884: 0ACA0B65
	v_mul_f32_e32 v102, v102, v6                               // 000000004888: 0ACC0D66
	v_mul_f32_e32 v103, v103, v7                               // 00000000488C: 0ACE0F67
	v_mul_f32_e32 v100, v100, v136                             // 000000004890: 0AC91164
	v_mul_f32_e32 v101, v101, v137                             // 000000004894: 0ACB1365
	v_mul_f32_e32 v102, v102, v138                             // 000000004898: 0ACD1566
	v_mul_f32_e32 v103, v103, v139                             // 00000000489C: 0ACF1767
	v_pk_mul_f32 v[4:5], v[104:105], v[104:105]                // 0000000048A0: D3B14004 1802D168
	v_pk_mul_f32 v[6:7], v[106:107], v[106:107]                // 0000000048A8: D3B14006 1802D56A
	v_pk_fma_f32 v[4:5], v[4:5], s[78:79], v[8:9]              // 0000000048B0: D3B04004 1C209D04
	v_pk_fma_f32 v[6:7], v[6:7], s[78:79], v[8:9]              // 0000000048B8: D3B04006 1C209D06
	v_pk_mul_f32 v[4:5], v[4:5], v[104:105]                    // 0000000048C0: D3B14004 1802D104
	v_pk_mul_f32 v[6:7], v[6:7], v[106:107]                    // 0000000048C8: D3B14006 1802D506
	v_pk_mul_f32 v[4:5], v[4:5], s[60:61]                      // 0000000048D0: D3B14004 18007904
	v_pk_mul_f32 v[6:7], v[6:7], s[60:61]                      // 0000000048D8: D3B14006 18007906
	v_exp_f32_e32 v4, v4                                       // 0000000048E0: 7E084104
	v_exp_f32_e32 v5, v5                                       // 0000000048E4: 7E0A4105
	v_exp_f32_e32 v6, v6                                       // 0000000048E8: 7E0C4106
	v_exp_f32_e32 v7, v7                                       // 0000000048EC: 7E0E4107
	v_add_f32_e64 v4, v4, 1.0                                  // 0000000048F0: D1010004 0001E504
	v_add_f32_e64 v5, v5, 1.0                                  // 0000000048F8: D1010005 0001E505
	v_add_f32_e64 v6, v6, 1.0                                  // 000000004900: D1010006 0001E506
	v_add_f32_e64 v7, v7, 1.0                                  // 000000004908: D1010007 0001E507
	v_rcp_f32_e32 v4, v4                                       // 000000004910: 7E084504
	v_rcp_f32_e32 v5, v5                                       // 000000004914: 7E0A4505
	v_rcp_f32_e32 v6, v6                                       // 000000004918: 7E0C4506
	v_rcp_f32_e32 v7, v7                                       // 00000000491C: 7E0E4507
	v_mul_f32_e32 v104, v104, v4                               // 000000004920: 0AD00968
	v_mul_f32_e32 v105, v105, v5                               // 000000004924: 0AD20B69
	v_mul_f32_e32 v106, v106, v6                               // 000000004928: 0AD40D6A
	v_mul_f32_e32 v107, v107, v7                               // 00000000492C: 0AD60F6B
	v_mul_f32_e32 v104, v104, v140                             // 000000004930: 0AD11968
	v_mul_f32_e32 v105, v105, v141                             // 000000004934: 0AD31B69
	v_mul_f32_e32 v106, v106, v142                             // 000000004938: 0AD51D6A
	v_mul_f32_e32 v107, v107, v143                             // 00000000493C: 0AD71F6B
	v_pk_mul_f32 v[4:5], v[108:109], v[108:109]                // 000000004940: D3B14004 1802D96C
	v_pk_mul_f32 v[6:7], v[110:111], v[110:111]                // 000000004948: D3B14006 1802DD6E
	v_pk_fma_f32 v[4:5], v[4:5], s[78:79], v[8:9]              // 000000004950: D3B04004 1C209D04
	v_pk_fma_f32 v[6:7], v[6:7], s[78:79], v[8:9]              // 000000004958: D3B04006 1C209D06
	v_pk_mul_f32 v[4:5], v[4:5], v[108:109]                    // 000000004960: D3B14004 1802D904
	v_pk_mul_f32 v[6:7], v[6:7], v[110:111]                    // 000000004968: D3B14006 1802DD06
	v_pk_mul_f32 v[4:5], v[4:5], s[60:61]                      // 000000004970: D3B14004 18007904
	v_pk_mul_f32 v[6:7], v[6:7], s[60:61]                      // 000000004978: D3B14006 18007906
	v_exp_f32_e32 v4, v4                                       // 000000004980: 7E084104
	v_exp_f32_e32 v5, v5                                       // 000000004984: 7E0A4105
	v_exp_f32_e32 v6, v6                                       // 000000004988: 7E0C4106
	v_exp_f32_e32 v7, v7                                       // 00000000498C: 7E0E4107
	v_add_f32_e64 v4, v4, 1.0                                  // 000000004990: D1010004 0001E504
	v_add_f32_e64 v5, v5, 1.0                                  // 000000004998: D1010005 0001E505
	v_add_f32_e64 v6, v6, 1.0                                  // 0000000049A0: D1010006 0001E506
	v_add_f32_e64 v7, v7, 1.0                                  // 0000000049A8: D1010007 0001E507
	v_rcp_f32_e32 v4, v4                                       // 0000000049B0: 7E084504
	v_rcp_f32_e32 v5, v5                                       // 0000000049B4: 7E0A4505
	v_rcp_f32_e32 v6, v6                                       // 0000000049B8: 7E0C4506
	v_rcp_f32_e32 v7, v7                                       // 0000000049BC: 7E0E4507
	v_mul_f32_e32 v108, v108, v4                               // 0000000049C0: 0AD8096C
	v_mul_f32_e32 v109, v109, v5                               // 0000000049C4: 0ADA0B6D
	v_mul_f32_e32 v110, v110, v6                               // 0000000049C8: 0ADC0D6E
	v_mul_f32_e32 v111, v111, v7                               // 0000000049CC: 0ADE0F6F
	v_mul_f32_e32 v108, v108, v144                             // 0000000049D0: 0AD9216C
	v_mul_f32_e32 v109, v109, v145                             // 0000000049D4: 0ADB236D
	v_mul_f32_e32 v110, v110, v146                             // 0000000049D8: 0ADD256E
	v_mul_f32_e32 v111, v111, v147                             // 0000000049DC: 0ADF276F
	v_pk_mul_f32 v[4:5], v[112:113], v[112:113]                // 0000000049E0: D3B14004 1802E170
	v_pk_mul_f32 v[6:7], v[114:115], v[114:115]                // 0000000049E8: D3B14006 1802E572
	v_pk_fma_f32 v[4:5], v[4:5], s[78:79], v[8:9]              // 0000000049F0: D3B04004 1C209D04
	v_pk_fma_f32 v[6:7], v[6:7], s[78:79], v[8:9]              // 0000000049F8: D3B04006 1C209D06
	v_pk_mul_f32 v[4:5], v[4:5], v[112:113]                    // 000000004A00: D3B14004 1802E104
	v_pk_mul_f32 v[6:7], v[6:7], v[114:115]                    // 000000004A08: D3B14006 1802E506
	v_pk_mul_f32 v[4:5], v[4:5], s[60:61]                      // 000000004A10: D3B14004 18007904
	v_pk_mul_f32 v[6:7], v[6:7], s[60:61]                      // 000000004A18: D3B14006 18007906
	v_exp_f32_e32 v4, v4                                       // 000000004A20: 7E084104
	v_exp_f32_e32 v5, v5                                       // 000000004A24: 7E0A4105
	v_exp_f32_e32 v6, v6                                       // 000000004A28: 7E0C4106
	v_exp_f32_e32 v7, v7                                       // 000000004A2C: 7E0E4107
	v_add_f32_e64 v4, v4, 1.0                                  // 000000004A30: D1010004 0001E504
	v_add_f32_e64 v5, v5, 1.0                                  // 000000004A38: D1010005 0001E505
	v_add_f32_e64 v6, v6, 1.0                                  // 000000004A40: D1010006 0001E506
	v_add_f32_e64 v7, v7, 1.0                                  // 000000004A48: D1010007 0001E507
	v_rcp_f32_e32 v4, v4                                       // 000000004A50: 7E084504
	v_rcp_f32_e32 v5, v5                                       // 000000004A54: 7E0A4505
	v_rcp_f32_e32 v6, v6                                       // 000000004A58: 7E0C4506
	v_rcp_f32_e32 v7, v7                                       // 000000004A5C: 7E0E4507
	v_mul_f32_e32 v112, v112, v4                               // 000000004A60: 0AE00970
	v_mul_f32_e32 v113, v113, v5                               // 000000004A64: 0AE20B71
	v_mul_f32_e32 v114, v114, v6                               // 000000004A68: 0AE40D72
	v_mul_f32_e32 v115, v115, v7                               // 000000004A6C: 0AE60F73
	v_mul_f32_e32 v112, v112, v148                             // 000000004A70: 0AE12970
	v_mul_f32_e32 v113, v113, v149                             // 000000004A74: 0AE32B71
	v_mul_f32_e32 v114, v114, v150                             // 000000004A78: 0AE52D72
	v_mul_f32_e32 v115, v115, v151                             // 000000004A7C: 0AE72F73
	v_pk_mul_f32 v[4:5], v[116:117], v[116:117]                // 000000004A80: D3B14004 1802E974
	v_pk_mul_f32 v[6:7], v[118:119], v[118:119]                // 000000004A88: D3B14006 1802ED76
	v_pk_fma_f32 v[4:5], v[4:5], s[78:79], v[8:9]              // 000000004A90: D3B04004 1C209D04
	v_pk_fma_f32 v[6:7], v[6:7], s[78:79], v[8:9]              // 000000004A98: D3B04006 1C209D06
	v_pk_mul_f32 v[4:5], v[4:5], v[116:117]                    // 000000004AA0: D3B14004 1802E904
	v_pk_mul_f32 v[6:7], v[6:7], v[118:119]                    // 000000004AA8: D3B14006 1802ED06
	v_pk_mul_f32 v[4:5], v[4:5], s[60:61]                      // 000000004AB0: D3B14004 18007904
	v_pk_mul_f32 v[6:7], v[6:7], s[60:61]                      // 000000004AB8: D3B14006 18007906
	v_exp_f32_e32 v4, v4                                       // 000000004AC0: 7E084104
	v_exp_f32_e32 v5, v5                                       // 000000004AC4: 7E0A4105
	v_exp_f32_e32 v6, v6                                       // 000000004AC8: 7E0C4106
	v_exp_f32_e32 v7, v7                                       // 000000004ACC: 7E0E4107
	v_add_f32_e64 v4, v4, 1.0                                  // 000000004AD0: D1010004 0001E504
	v_add_f32_e64 v5, v5, 1.0                                  // 000000004AD8: D1010005 0001E505
	v_add_f32_e64 v6, v6, 1.0                                  // 000000004AE0: D1010006 0001E506
	v_add_f32_e64 v7, v7, 1.0                                  // 000000004AE8: D1010007 0001E507
	v_rcp_f32_e32 v4, v4                                       // 000000004AF0: 7E084504
	v_rcp_f32_e32 v5, v5                                       // 000000004AF4: 7E0A4505
	v_rcp_f32_e32 v6, v6                                       // 000000004AF8: 7E0C4506
	v_rcp_f32_e32 v7, v7                                       // 000000004AFC: 7E0E4507
	v_mul_f32_e32 v116, v116, v4                               // 000000004B00: 0AE80974
	v_mul_f32_e32 v117, v117, v5                               // 000000004B04: 0AEA0B75
	v_mul_f32_e32 v118, v118, v6                               // 000000004B08: 0AEC0D76
	v_mul_f32_e32 v119, v119, v7                               // 000000004B0C: 0AEE0F77
	v_mul_f32_e32 v116, v116, v152                             // 000000004B10: 0AE93174
	v_mul_f32_e32 v117, v117, v153                             // 000000004B14: 0AEB3375
	v_mul_f32_e32 v118, v118, v154                             // 000000004B18: 0AED3576
	v_mul_f32_e32 v119, v119, v155                             // 000000004B1C: 0AEF3777
	s_branch label_0969                                        // 000000004B20: BF820120

0000000000004b24 <label_0849>:
	v_mul_f32_e64 v4, -v84, s6                                 // 000000004B24: D1050004 20000D54
	v_mul_f32_e64 v5, -v85, s6                                 // 000000004B2C: D1050005 20000D55
	v_mul_f32_e64 v6, -v86, s6                                 // 000000004B34: D1050006 20000D56
	v_mul_f32_e64 v7, -v87, s6                                 // 000000004B3C: D1050007 20000D57
	v_exp_f32_e32 v4, v4                                       // 000000004B44: 7E084104
	v_exp_f32_e32 v5, v5                                       // 000000004B48: 7E0A4105
	v_exp_f32_e32 v6, v6                                       // 000000004B4C: 7E0C4106
	v_exp_f32_e32 v7, v7                                       // 000000004B50: 7E0E4107
	v_add_f32_e64 v4, v4, 1.0                                  // 000000004B54: D1010004 0001E504
	v_add_f32_e64 v5, v5, 1.0                                  // 000000004B5C: D1010005 0001E505
	v_add_f32_e64 v6, v6, 1.0                                  // 000000004B64: D1010006 0001E506
	v_add_f32_e64 v7, v7, 1.0                                  // 000000004B6C: D1010007 0001E507
	v_rcp_f32_e32 v4, v4                                       // 000000004B74: 7E084504
	v_rcp_f32_e32 v5, v5                                       // 000000004B78: 7E0A4505
	v_rcp_f32_e32 v6, v6                                       // 000000004B7C: 7E0C4506
	v_rcp_f32_e32 v7, v7                                       // 000000004B80: 7E0E4507
	v_mul_f32_e32 v84, v84, v4                                 // 000000004B84: 0AA80954
	v_mul_f32_e32 v85, v85, v5                                 // 000000004B88: 0AAA0B55
	v_mul_f32_e32 v86, v86, v6                                 // 000000004B8C: 0AAC0D56
	v_mul_f32_e32 v87, v87, v7                                 // 000000004B90: 0AAE0F57
	v_mul_f32_e32 v84, v84, v120                               // 000000004B94: 0AA8F154
	v_mul_f32_e32 v85, v85, v121                               // 000000004B98: 0AAAF355
	v_mul_f32_e32 v86, v86, v122                               // 000000004B9C: 0AACF556
	v_mul_f32_e32 v87, v87, v123                               // 000000004BA0: 0AAEF757
	v_mul_f32_e64 v4, -v88, s6                                 // 000000004BA4: D1050004 20000D58
	v_mul_f32_e64 v5, -v89, s6                                 // 000000004BAC: D1050005 20000D59
	v_mul_f32_e64 v6, -v90, s6                                 // 000000004BB4: D1050006 20000D5A
	v_mul_f32_e64 v7, -v91, s6                                 // 000000004BBC: D1050007 20000D5B
	v_exp_f32_e32 v4, v4                                       // 000000004BC4: 7E084104
	v_exp_f32_e32 v5, v5                                       // 000000004BC8: 7E0A4105
	v_exp_f32_e32 v6, v6                                       // 000000004BCC: 7E0C4106
	v_exp_f32_e32 v7, v7                                       // 000000004BD0: 7E0E4107
	v_add_f32_e64 v4, v4, 1.0                                  // 000000004BD4: D1010004 0001E504
	v_add_f32_e64 v5, v5, 1.0                                  // 000000004BDC: D1010005 0001E505
	v_add_f32_e64 v6, v6, 1.0                                  // 000000004BE4: D1010006 0001E506
	v_add_f32_e64 v7, v7, 1.0                                  // 000000004BEC: D1010007 0001E507
	v_rcp_f32_e32 v4, v4                                       // 000000004BF4: 7E084504
	v_rcp_f32_e32 v5, v5                                       // 000000004BF8: 7E0A4505
	v_rcp_f32_e32 v6, v6                                       // 000000004BFC: 7E0C4506
	v_rcp_f32_e32 v7, v7                                       // 000000004C00: 7E0E4507
	v_mul_f32_e32 v88, v88, v4                                 // 000000004C04: 0AB00958
	v_mul_f32_e32 v89, v89, v5                                 // 000000004C08: 0AB20B59
	v_mul_f32_e32 v90, v90, v6                                 // 000000004C0C: 0AB40D5A
	v_mul_f32_e32 v91, v91, v7                                 // 000000004C10: 0AB60F5B
	v_mul_f32_e32 v88, v88, v124                               // 000000004C14: 0AB0F958
	v_mul_f32_e32 v89, v89, v125                               // 000000004C18: 0AB2FB59
	v_mul_f32_e32 v90, v90, v126                               // 000000004C1C: 0AB4FD5A
	v_mul_f32_e32 v91, v91, v127                               // 000000004C20: 0AB6FF5B
	v_mul_f32_e64 v4, -v92, s6                                 // 000000004C24: D1050004 20000D5C
	v_mul_f32_e64 v5, -v93, s6                                 // 000000004C2C: D1050005 20000D5D
	v_mul_f32_e64 v6, -v94, s6                                 // 000000004C34: D1050006 20000D5E
	v_mul_f32_e64 v7, -v95, s6                                 // 000000004C3C: D1050007 20000D5F
	v_exp_f32_e32 v4, v4                                       // 000000004C44: 7E084104
	v_exp_f32_e32 v5, v5                                       // 000000004C48: 7E0A4105
	v_exp_f32_e32 v6, v6                                       // 000000004C4C: 7E0C4106
	v_exp_f32_e32 v7, v7                                       // 000000004C50: 7E0E4107
	v_add_f32_e64 v4, v4, 1.0                                  // 000000004C54: D1010004 0001E504
	v_add_f32_e64 v5, v5, 1.0                                  // 000000004C5C: D1010005 0001E505
	v_add_f32_e64 v6, v6, 1.0                                  // 000000004C64: D1010006 0001E506
	v_add_f32_e64 v7, v7, 1.0                                  // 000000004C6C: D1010007 0001E507
	v_rcp_f32_e32 v4, v4                                       // 000000004C74: 7E084504
	v_rcp_f32_e32 v5, v5                                       // 000000004C78: 7E0A4505
	v_rcp_f32_e32 v6, v6                                       // 000000004C7C: 7E0C4506
	v_rcp_f32_e32 v7, v7                                       // 000000004C80: 7E0E4507
	v_mul_f32_e32 v92, v92, v4                                 // 000000004C84: 0AB8095C
	v_mul_f32_e32 v93, v93, v5                                 // 000000004C88: 0ABA0B5D
	v_mul_f32_e32 v94, v94, v6                                 // 000000004C8C: 0ABC0D5E
	v_mul_f32_e32 v95, v95, v7                                 // 000000004C90: 0ABE0F5F
	v_mul_f32_e32 v92, v92, v128                               // 000000004C94: 0AB9015C
	v_mul_f32_e32 v93, v93, v129                               // 000000004C98: 0ABB035D
	v_mul_f32_e32 v94, v94, v130                               // 000000004C9C: 0ABD055E
	v_mul_f32_e32 v95, v95, v131                               // 000000004CA0: 0ABF075F
	v_mul_f32_e64 v4, -v96, s6                                 // 000000004CA4: D1050004 20000D60
	v_mul_f32_e64 v5, -v97, s6                                 // 000000004CAC: D1050005 20000D61
	v_mul_f32_e64 v6, -v98, s6                                 // 000000004CB4: D1050006 20000D62
	v_mul_f32_e64 v7, -v99, s6                                 // 000000004CBC: D1050007 20000D63
	v_exp_f32_e32 v4, v4                                       // 000000004CC4: 7E084104
	v_exp_f32_e32 v5, v5                                       // 000000004CC8: 7E0A4105
	v_exp_f32_e32 v6, v6                                       // 000000004CCC: 7E0C4106
	v_exp_f32_e32 v7, v7                                       // 000000004CD0: 7E0E4107
	v_add_f32_e64 v4, v4, 1.0                                  // 000000004CD4: D1010004 0001E504
	v_add_f32_e64 v5, v5, 1.0                                  // 000000004CDC: D1010005 0001E505
	v_add_f32_e64 v6, v6, 1.0                                  // 000000004CE4: D1010006 0001E506
	v_add_f32_e64 v7, v7, 1.0                                  // 000000004CEC: D1010007 0001E507
	v_rcp_f32_e32 v4, v4                                       // 000000004CF4: 7E084504
	v_rcp_f32_e32 v5, v5                                       // 000000004CF8: 7E0A4505
	v_rcp_f32_e32 v6, v6                                       // 000000004CFC: 7E0C4506
	v_rcp_f32_e32 v7, v7                                       // 000000004D00: 7E0E4507
	v_mul_f32_e32 v96, v96, v4                                 // 000000004D04: 0AC00960
	v_mul_f32_e32 v97, v97, v5                                 // 000000004D08: 0AC20B61
	v_mul_f32_e32 v98, v98, v6                                 // 000000004D0C: 0AC40D62
	v_mul_f32_e32 v99, v99, v7                                 // 000000004D10: 0AC60F63
	v_mul_f32_e32 v96, v96, v132                               // 000000004D14: 0AC10960
	v_mul_f32_e32 v97, v97, v133                               // 000000004D18: 0AC30B61
	v_mul_f32_e32 v98, v98, v134                               // 000000004D1C: 0AC50D62
	v_mul_f32_e32 v99, v99, v135                               // 000000004D20: 0AC70F63
	v_mul_f32_e64 v4, -v100, s6                                // 000000004D24: D1050004 20000D64
	v_mul_f32_e64 v5, -v101, s6                                // 000000004D2C: D1050005 20000D65
	v_mul_f32_e64 v6, -v102, s6                                // 000000004D34: D1050006 20000D66
	v_mul_f32_e64 v7, -v103, s6                                // 000000004D3C: D1050007 20000D67
	v_exp_f32_e32 v4, v4                                       // 000000004D44: 7E084104
	v_exp_f32_e32 v5, v5                                       // 000000004D48: 7E0A4105
	v_exp_f32_e32 v6, v6                                       // 000000004D4C: 7E0C4106
	v_exp_f32_e32 v7, v7                                       // 000000004D50: 7E0E4107
	v_add_f32_e64 v4, v4, 1.0                                  // 000000004D54: D1010004 0001E504
	v_add_f32_e64 v5, v5, 1.0                                  // 000000004D5C: D1010005 0001E505
	v_add_f32_e64 v6, v6, 1.0                                  // 000000004D64: D1010006 0001E506
	v_add_f32_e64 v7, v7, 1.0                                  // 000000004D6C: D1010007 0001E507
	v_rcp_f32_e32 v4, v4                                       // 000000004D74: 7E084504
	v_rcp_f32_e32 v5, v5                                       // 000000004D78: 7E0A4505
	v_rcp_f32_e32 v6, v6                                       // 000000004D7C: 7E0C4506
	v_rcp_f32_e32 v7, v7                                       // 000000004D80: 7E0E4507
	v_mul_f32_e32 v100, v100, v4                               // 000000004D84: 0AC80964
	v_mul_f32_e32 v101, v101, v5                               // 000000004D88: 0ACA0B65
	v_mul_f32_e32 v102, v102, v6                               // 000000004D8C: 0ACC0D66
	v_mul_f32_e32 v103, v103, v7                               // 000000004D90: 0ACE0F67
	v_mul_f32_e32 v100, v100, v136                             // 000000004D94: 0AC91164
	v_mul_f32_e32 v101, v101, v137                             // 000000004D98: 0ACB1365
	v_mul_f32_e32 v102, v102, v138                             // 000000004D9C: 0ACD1566
	v_mul_f32_e32 v103, v103, v139                             // 000000004DA0: 0ACF1767
	v_mul_f32_e64 v4, -v104, s6                                // 000000004DA4: D1050004 20000D68
	v_mul_f32_e64 v5, -v105, s6                                // 000000004DAC: D1050005 20000D69
	v_mul_f32_e64 v6, -v106, s6                                // 000000004DB4: D1050006 20000D6A
	v_mul_f32_e64 v7, -v107, s6                                // 000000004DBC: D1050007 20000D6B
	v_exp_f32_e32 v4, v4                                       // 000000004DC4: 7E084104
	v_exp_f32_e32 v5, v5                                       // 000000004DC8: 7E0A4105
	v_exp_f32_e32 v6, v6                                       // 000000004DCC: 7E0C4106
	v_exp_f32_e32 v7, v7                                       // 000000004DD0: 7E0E4107
	v_add_f32_e64 v4, v4, 1.0                                  // 000000004DD4: D1010004 0001E504
	v_add_f32_e64 v5, v5, 1.0                                  // 000000004DDC: D1010005 0001E505
	v_add_f32_e64 v6, v6, 1.0                                  // 000000004DE4: D1010006 0001E506
	v_add_f32_e64 v7, v7, 1.0                                  // 000000004DEC: D1010007 0001E507
	v_rcp_f32_e32 v4, v4                                       // 000000004DF4: 7E084504
	v_rcp_f32_e32 v5, v5                                       // 000000004DF8: 7E0A4505
	v_rcp_f32_e32 v6, v6                                       // 000000004DFC: 7E0C4506
	v_rcp_f32_e32 v7, v7                                       // 000000004E00: 7E0E4507
	v_mul_f32_e32 v104, v104, v4                               // 000000004E04: 0AD00968
	v_mul_f32_e32 v105, v105, v5                               // 000000004E08: 0AD20B69
	v_mul_f32_e32 v106, v106, v6                               // 000000004E0C: 0AD40D6A
	v_mul_f32_e32 v107, v107, v7                               // 000000004E10: 0AD60F6B
	v_mul_f32_e32 v104, v104, v140                             // 000000004E14: 0AD11968
	v_mul_f32_e32 v105, v105, v141                             // 000000004E18: 0AD31B69
	v_mul_f32_e32 v106, v106, v142                             // 000000004E1C: 0AD51D6A
	v_mul_f32_e32 v107, v107, v143                             // 000000004E20: 0AD71F6B
	v_mul_f32_e64 v4, -v108, s6                                // 000000004E24: D1050004 20000D6C
	v_mul_f32_e64 v5, -v109, s6                                // 000000004E2C: D1050005 20000D6D
	v_mul_f32_e64 v6, -v110, s6                                // 000000004E34: D1050006 20000D6E
	v_mul_f32_e64 v7, -v111, s6                                // 000000004E3C: D1050007 20000D6F
	v_exp_f32_e32 v4, v4                                       // 000000004E44: 7E084104
	v_exp_f32_e32 v5, v5                                       // 000000004E48: 7E0A4105
	v_exp_f32_e32 v6, v6                                       // 000000004E4C: 7E0C4106
	v_exp_f32_e32 v7, v7                                       // 000000004E50: 7E0E4107
	v_add_f32_e64 v4, v4, 1.0                                  // 000000004E54: D1010004 0001E504
	v_add_f32_e64 v5, v5, 1.0                                  // 000000004E5C: D1010005 0001E505
	v_add_f32_e64 v6, v6, 1.0                                  // 000000004E64: D1010006 0001E506
	v_add_f32_e64 v7, v7, 1.0                                  // 000000004E6C: D1010007 0001E507
	v_rcp_f32_e32 v4, v4                                       // 000000004E74: 7E084504
	v_rcp_f32_e32 v5, v5                                       // 000000004E78: 7E0A4505
	v_rcp_f32_e32 v6, v6                                       // 000000004E7C: 7E0C4506
	v_rcp_f32_e32 v7, v7                                       // 000000004E80: 7E0E4507
	v_mul_f32_e32 v108, v108, v4                               // 000000004E84: 0AD8096C
	v_mul_f32_e32 v109, v109, v5                               // 000000004E88: 0ADA0B6D
	v_mul_f32_e32 v110, v110, v6                               // 000000004E8C: 0ADC0D6E
	v_mul_f32_e32 v111, v111, v7                               // 000000004E90: 0ADE0F6F
	v_mul_f32_e32 v108, v108, v144                             // 000000004E94: 0AD9216C
	v_mul_f32_e32 v109, v109, v145                             // 000000004E98: 0ADB236D
	v_mul_f32_e32 v110, v110, v146                             // 000000004E9C: 0ADD256E
	v_mul_f32_e32 v111, v111, v147                             // 000000004EA0: 0ADF276F
	v_mul_f32_e64 v4, -v112, s6                                // 000000004EA4: D1050004 20000D70
	v_mul_f32_e64 v5, -v113, s6                                // 000000004EAC: D1050005 20000D71
	v_mul_f32_e64 v6, -v114, s6                                // 000000004EB4: D1050006 20000D72
	v_mul_f32_e64 v7, -v115, s6                                // 000000004EBC: D1050007 20000D73
	v_exp_f32_e32 v4, v4                                       // 000000004EC4: 7E084104
	v_exp_f32_e32 v5, v5                                       // 000000004EC8: 7E0A4105
	v_exp_f32_e32 v6, v6                                       // 000000004ECC: 7E0C4106
	v_exp_f32_e32 v7, v7                                       // 000000004ED0: 7E0E4107
	v_add_f32_e64 v4, v4, 1.0                                  // 000000004ED4: D1010004 0001E504
	v_add_f32_e64 v5, v5, 1.0                                  // 000000004EDC: D1010005 0001E505
	v_add_f32_e64 v6, v6, 1.0                                  // 000000004EE4: D1010006 0001E506
	v_add_f32_e64 v7, v7, 1.0                                  // 000000004EEC: D1010007 0001E507
	v_rcp_f32_e32 v4, v4                                       // 000000004EF4: 7E084504
	v_rcp_f32_e32 v5, v5                                       // 000000004EF8: 7E0A4505
	v_rcp_f32_e32 v6, v6                                       // 000000004EFC: 7E0C4506
	v_rcp_f32_e32 v7, v7                                       // 000000004F00: 7E0E4507
	v_mul_f32_e32 v112, v112, v4                               // 000000004F04: 0AE00970
	v_mul_f32_e32 v113, v113, v5                               // 000000004F08: 0AE20B71
	v_mul_f32_e32 v114, v114, v6                               // 000000004F0C: 0AE40D72
	v_mul_f32_e32 v115, v115, v7                               // 000000004F10: 0AE60F73
	v_mul_f32_e32 v112, v112, v148                             // 000000004F14: 0AE12970
	v_mul_f32_e32 v113, v113, v149                             // 000000004F18: 0AE32B71
	v_mul_f32_e32 v114, v114, v150                             // 000000004F1C: 0AE52D72
	v_mul_f32_e32 v115, v115, v151                             // 000000004F20: 0AE72F73
	v_mul_f32_e64 v4, -v116, s6                                // 000000004F24: D1050004 20000D74
	v_mul_f32_e64 v5, -v117, s6                                // 000000004F2C: D1050005 20000D75
	v_mul_f32_e64 v6, -v118, s6                                // 000000004F34: D1050006 20000D76
	v_mul_f32_e64 v7, -v119, s6                                // 000000004F3C: D1050007 20000D77
	v_exp_f32_e32 v4, v4                                       // 000000004F44: 7E084104
	v_exp_f32_e32 v5, v5                                       // 000000004F48: 7E0A4105
	v_exp_f32_e32 v6, v6                                       // 000000004F4C: 7E0C4106
	v_exp_f32_e32 v7, v7                                       // 000000004F50: 7E0E4107
	v_add_f32_e64 v4, v4, 1.0                                  // 000000004F54: D1010004 0001E504
	v_add_f32_e64 v5, v5, 1.0                                  // 000000004F5C: D1010005 0001E505
	v_add_f32_e64 v6, v6, 1.0                                  // 000000004F64: D1010006 0001E506
	v_add_f32_e64 v7, v7, 1.0                                  // 000000004F6C: D1010007 0001E507
	v_rcp_f32_e32 v4, v4                                       // 000000004F74: 7E084504
	v_rcp_f32_e32 v5, v5                                       // 000000004F78: 7E0A4505
	v_rcp_f32_e32 v6, v6                                       // 000000004F7C: 7E0C4506
	v_rcp_f32_e32 v7, v7                                       // 000000004F80: 7E0E4507
	v_mul_f32_e32 v116, v116, v4                               // 000000004F84: 0AE80974
	v_mul_f32_e32 v117, v117, v5                               // 000000004F88: 0AEA0B75
	v_mul_f32_e32 v118, v118, v6                               // 000000004F8C: 0AEC0D76
	v_mul_f32_e32 v119, v119, v7                               // 000000004F90: 0AEE0F77
	v_mul_f32_e32 v116, v116, v152                             // 000000004F94: 0AE93174
	v_mul_f32_e32 v117, v117, v153                             // 000000004F98: 0AEB3375
	v_mul_f32_e32 v118, v118, v154                             // 000000004F9C: 0AED3576
	v_mul_f32_e32 v119, v119, v155                             // 000000004FA0: 0AEF3777

0000000000004fa4 <label_0969>:
	v_cmp_u_f32_e64 s[46:47], v84, v84                         // 000000004FA4: D048002E 0002A954
	v_add3_u32 v16, v84, v19, 1                                // 000000004FAC: D1FF0010 02062754
	v_cndmask_b32_e64 v4, v16, v18, s[46:47]                   // 000000004FB4: D1000004 00BA2510
	v_cmp_u_f32_e64 s[46:47], v85, v85                         // 000000004FBC: D048002E 0002AB55
	v_add3_u32 v16, v85, v19, 1                                // 000000004FC4: D1FF0010 02062755
	v_cndmask_b32_e64 v5, v16, v18, s[46:47]                   // 000000004FCC: D1000005 00BA2510
	v_perm_b32 v84, v5, v4, s52                                // 000000004FD4: D1ED0054 00D20905
	v_cmp_u_f32_e64 s[46:47], v86, v86                         // 000000004FDC: D048002E 0002AD56
	v_add3_u32 v16, v86, v19, 1                                // 000000004FE4: D1FF0010 02062756
	v_cndmask_b32_e64 v4, v16, v18, s[46:47]                   // 000000004FEC: D1000004 00BA2510
	v_cmp_u_f32_e64 s[46:47], v87, v87                         // 000000004FF4: D048002E 0002AF57
	v_add3_u32 v16, v87, v19, 1                                // 000000004FFC: D1FF0010 02062757
	v_cndmask_b32_e64 v5, v16, v18, s[46:47]                   // 000000005004: D1000005 00BA2510
	v_perm_b32 v85, v5, v4, s52                                // 00000000500C: D1ED0055 00D20905
	v_cmp_u_f32_e64 s[46:47], v88, v88                         // 000000005014: D048002E 0002B158
	v_add3_u32 v16, v88, v19, 1                                // 00000000501C: D1FF0010 02062758
	v_cndmask_b32_e64 v4, v16, v18, s[46:47]                   // 000000005024: D1000004 00BA2510
	v_cmp_u_f32_e64 s[46:47], v89, v89                         // 00000000502C: D048002E 0002B359
	v_add3_u32 v16, v89, v19, 1                                // 000000005034: D1FF0010 02062759
	v_cndmask_b32_e64 v5, v16, v18, s[46:47]                   // 00000000503C: D1000005 00BA2510
	v_perm_b32 v86, v5, v4, s52                                // 000000005044: D1ED0056 00D20905
	v_cmp_u_f32_e64 s[46:47], v90, v90                         // 00000000504C: D048002E 0002B55A
	v_add3_u32 v16, v90, v19, 1                                // 000000005054: D1FF0010 0206275A
	v_cndmask_b32_e64 v4, v16, v18, s[46:47]                   // 00000000505C: D1000004 00BA2510
	v_cmp_u_f32_e64 s[46:47], v91, v91                         // 000000005064: D048002E 0002B75B
	v_add3_u32 v16, v91, v19, 1                                // 00000000506C: D1FF0010 0206275B
	v_cndmask_b32_e64 v5, v16, v18, s[46:47]                   // 000000005074: D1000005 00BA2510
	v_perm_b32 v87, v5, v4, s52                                // 00000000507C: D1ED0057 00D20905
	v_cmp_u_f32_e64 s[46:47], v92, v92                         // 000000005084: D048002E 0002B95C
	v_add3_u32 v16, v92, v19, 1                                // 00000000508C: D1FF0010 0206275C
	v_cndmask_b32_e64 v4, v16, v18, s[46:47]                   // 000000005094: D1000004 00BA2510
	v_cmp_u_f32_e64 s[46:47], v93, v93                         // 00000000509C: D048002E 0002BB5D
	v_add3_u32 v16, v93, v19, 1                                // 0000000050A4: D1FF0010 0206275D
	v_cndmask_b32_e64 v5, v16, v18, s[46:47]                   // 0000000050AC: D1000005 00BA2510
	v_perm_b32 v88, v5, v4, s52                                // 0000000050B4: D1ED0058 00D20905
	v_cmp_u_f32_e64 s[46:47], v94, v94                         // 0000000050BC: D048002E 0002BD5E
	v_add3_u32 v16, v94, v19, 1                                // 0000000050C4: D1FF0010 0206275E
	v_cndmask_b32_e64 v4, v16, v18, s[46:47]                   // 0000000050CC: D1000004 00BA2510
	v_cmp_u_f32_e64 s[46:47], v95, v95                         // 0000000050D4: D048002E 0002BF5F
	v_add3_u32 v16, v95, v19, 1                                // 0000000050DC: D1FF0010 0206275F
	v_cndmask_b32_e64 v5, v16, v18, s[46:47]                   // 0000000050E4: D1000005 00BA2510
	v_perm_b32 v89, v5, v4, s52                                // 0000000050EC: D1ED0059 00D20905
	v_cmp_u_f32_e64 s[46:47], v96, v96                         // 0000000050F4: D048002E 0002C160
	v_add3_u32 v16, v96, v19, 1                                // 0000000050FC: D1FF0010 02062760
	v_cndmask_b32_e64 v4, v16, v18, s[46:47]                   // 000000005104: D1000004 00BA2510
	v_cmp_u_f32_e64 s[46:47], v97, v97                         // 00000000510C: D048002E 0002C361
	v_add3_u32 v16, v97, v19, 1                                // 000000005114: D1FF0010 02062761
	v_cndmask_b32_e64 v5, v16, v18, s[46:47]                   // 00000000511C: D1000005 00BA2510
	v_perm_b32 v90, v5, v4, s52                                // 000000005124: D1ED005A 00D20905
	v_cmp_u_f32_e64 s[46:47], v98, v98                         // 00000000512C: D048002E 0002C562
	v_add3_u32 v16, v98, v19, 1                                // 000000005134: D1FF0010 02062762
	v_cndmask_b32_e64 v4, v16, v18, s[46:47]                   // 00000000513C: D1000004 00BA2510
	v_cmp_u_f32_e64 s[46:47], v99, v99                         // 000000005144: D048002E 0002C763
	v_add3_u32 v16, v99, v19, 1                                // 00000000514C: D1FF0010 02062763
	v_cndmask_b32_e64 v5, v16, v18, s[46:47]                   // 000000005154: D1000005 00BA2510
	v_perm_b32 v91, v5, v4, s52                                // 00000000515C: D1ED005B 00D20905
	v_cmp_u_f32_e64 s[46:47], v100, v100                       // 000000005164: D048002E 0002C964
	v_add3_u32 v16, v100, v19, 1                               // 00000000516C: D1FF0010 02062764
	v_cndmask_b32_e64 v4, v16, v18, s[46:47]                   // 000000005174: D1000004 00BA2510
	v_cmp_u_f32_e64 s[46:47], v101, v101                       // 00000000517C: D048002E 0002CB65
	v_add3_u32 v16, v101, v19, 1                               // 000000005184: D1FF0010 02062765
	v_cndmask_b32_e64 v5, v16, v18, s[46:47]                   // 00000000518C: D1000005 00BA2510
	v_perm_b32 v92, v5, v4, s52                                // 000000005194: D1ED005C 00D20905
	v_cmp_u_f32_e64 s[46:47], v102, v102                       // 00000000519C: D048002E 0002CD66
	v_add3_u32 v16, v102, v19, 1                               // 0000000051A4: D1FF0010 02062766
	v_cndmask_b32_e64 v4, v16, v18, s[46:47]                   // 0000000051AC: D1000004 00BA2510
	v_cmp_u_f32_e64 s[46:47], v103, v103                       // 0000000051B4: D048002E 0002CF67
	v_add3_u32 v16, v103, v19, 1                               // 0000000051BC: D1FF0010 02062767
	v_cndmask_b32_e64 v5, v16, v18, s[46:47]                   // 0000000051C4: D1000005 00BA2510
	v_perm_b32 v93, v5, v4, s52                                // 0000000051CC: D1ED005D 00D20905
	v_cmp_u_f32_e64 s[46:47], v104, v104                       // 0000000051D4: D048002E 0002D168
	v_add3_u32 v16, v104, v19, 1                               // 0000000051DC: D1FF0010 02062768
	v_cndmask_b32_e64 v4, v16, v18, s[46:47]                   // 0000000051E4: D1000004 00BA2510
	v_cmp_u_f32_e64 s[46:47], v105, v105                       // 0000000051EC: D048002E 0002D369
	v_add3_u32 v16, v105, v19, 1                               // 0000000051F4: D1FF0010 02062769
	v_cndmask_b32_e64 v5, v16, v18, s[46:47]                   // 0000000051FC: D1000005 00BA2510
	v_perm_b32 v94, v5, v4, s52                                // 000000005204: D1ED005E 00D20905
	v_cmp_u_f32_e64 s[46:47], v106, v106                       // 00000000520C: D048002E 0002D56A
	v_add3_u32 v16, v106, v19, 1                               // 000000005214: D1FF0010 0206276A
	v_cndmask_b32_e64 v4, v16, v18, s[46:47]                   // 00000000521C: D1000004 00BA2510
	v_cmp_u_f32_e64 s[46:47], v107, v107                       // 000000005224: D048002E 0002D76B
	v_add3_u32 v16, v107, v19, 1                               // 00000000522C: D1FF0010 0206276B
	v_cndmask_b32_e64 v5, v16, v18, s[46:47]                   // 000000005234: D1000005 00BA2510
	v_perm_b32 v95, v5, v4, s52                                // 00000000523C: D1ED005F 00D20905
	v_cmp_u_f32_e64 s[46:47], v108, v108                       // 000000005244: D048002E 0002D96C
	v_add3_u32 v16, v108, v19, 1                               // 00000000524C: D1FF0010 0206276C
	v_cndmask_b32_e64 v4, v16, v18, s[46:47]                   // 000000005254: D1000004 00BA2510
	v_cmp_u_f32_e64 s[46:47], v109, v109                       // 00000000525C: D048002E 0002DB6D
	v_add3_u32 v16, v109, v19, 1                               // 000000005264: D1FF0010 0206276D
	v_cndmask_b32_e64 v5, v16, v18, s[46:47]                   // 00000000526C: D1000005 00BA2510
	v_perm_b32 v96, v5, v4, s52                                // 000000005274: D1ED0060 00D20905
	v_cmp_u_f32_e64 s[46:47], v110, v110                       // 00000000527C: D048002E 0002DD6E
	v_add3_u32 v16, v110, v19, 1                               // 000000005284: D1FF0010 0206276E
	v_cndmask_b32_e64 v4, v16, v18, s[46:47]                   // 00000000528C: D1000004 00BA2510
	v_cmp_u_f32_e64 s[46:47], v111, v111                       // 000000005294: D048002E 0002DF6F
	v_add3_u32 v16, v111, v19, 1                               // 00000000529C: D1FF0010 0206276F
	v_cndmask_b32_e64 v5, v16, v18, s[46:47]                   // 0000000052A4: D1000005 00BA2510
	v_perm_b32 v97, v5, v4, s52                                // 0000000052AC: D1ED0061 00D20905
	v_cmp_u_f32_e64 s[46:47], v112, v112                       // 0000000052B4: D048002E 0002E170
	v_add3_u32 v16, v112, v19, 1                               // 0000000052BC: D1FF0010 02062770
	v_cndmask_b32_e64 v4, v16, v18, s[46:47]                   // 0000000052C4: D1000004 00BA2510
	v_cmp_u_f32_e64 s[46:47], v113, v113                       // 0000000052CC: D048002E 0002E371
	v_add3_u32 v16, v113, v19, 1                               // 0000000052D4: D1FF0010 02062771
	v_cndmask_b32_e64 v5, v16, v18, s[46:47]                   // 0000000052DC: D1000005 00BA2510
	v_perm_b32 v98, v5, v4, s52                                // 0000000052E4: D1ED0062 00D20905
	v_cmp_u_f32_e64 s[46:47], v114, v114                       // 0000000052EC: D048002E 0002E572
	v_add3_u32 v16, v114, v19, 1                               // 0000000052F4: D1FF0010 02062772
	v_cndmask_b32_e64 v4, v16, v18, s[46:47]                   // 0000000052FC: D1000004 00BA2510
	v_cmp_u_f32_e64 s[46:47], v115, v115                       // 000000005304: D048002E 0002E773
	v_add3_u32 v16, v115, v19, 1                               // 00000000530C: D1FF0010 02062773
	v_cndmask_b32_e64 v5, v16, v18, s[46:47]                   // 000000005314: D1000005 00BA2510
	v_perm_b32 v99, v5, v4, s52                                // 00000000531C: D1ED0063 00D20905
	v_cmp_u_f32_e64 s[46:47], v116, v116                       // 000000005324: D048002E 0002E974
	v_add3_u32 v16, v116, v19, 1                               // 00000000532C: D1FF0010 02062774
	v_cndmask_b32_e64 v4, v16, v18, s[46:47]                   // 000000005334: D1000004 00BA2510
	v_cmp_u_f32_e64 s[46:47], v117, v117                       // 00000000533C: D048002E 0002EB75
	v_add3_u32 v16, v117, v19, 1                               // 000000005344: D1FF0010 02062775
	v_cndmask_b32_e64 v5, v16, v18, s[46:47]                   // 00000000534C: D1000005 00BA2510
	v_perm_b32 v100, v5, v4, s52                               // 000000005354: D1ED0064 00D20905
	v_cmp_u_f32_e64 s[46:47], v118, v118                       // 00000000535C: D048002E 0002ED76
	v_add3_u32 v16, v118, v19, 1                               // 000000005364: D1FF0010 02062776
	v_cndmask_b32_e64 v4, v16, v18, s[46:47]                   // 00000000536C: D1000004 00BA2510
	v_cmp_u_f32_e64 s[46:47], v119, v119                       // 000000005374: D048002E 0002EF77
	v_add3_u32 v16, v119, v19, 1                               // 00000000537C: D1FF0010 02062777
	v_cndmask_b32_e64 v5, v16, v18, s[46:47]                   // 000000005384: D1000005 00BA2510
	v_perm_b32 v101, v5, v4, s52                               // 00000000538C: D1ED0065 00D20905
	ds_write_b64 v20, v[84:85]                                 // 000000005394: D89A0000 00005414
	ds_write_b64 v20, v[86:87] offset:2176                     // 00000000539C: D89A0880 00005614
	ds_write_b64 v20, v[88:89] offset:4352                     // 0000000053A4: D89A1100 00005814
	ds_write_b64 v20, v[90:91] offset:6528                     // 0000000053AC: D89A1980 00005A14
	ds_write_b64 v20, v[92:93] offset:8704                     // 0000000053B4: D89A2200 00005C14
	ds_write_b64 v20, v[94:95] offset:10880                    // 0000000053BC: D89A2A80 00005E14
	ds_write_b64 v20, v[96:97] offset:13056                    // 0000000053C4: D89A3300 00006014
	ds_write_b64 v20, v[98:99] offset:15232                    // 0000000053CC: D89A3B80 00006214
	ds_write_b64 v20, v[100:101] offset:17408                  // 0000000053D4: D89A4400 00006414
	v_lshrrev_b32_e32 v4, 5, v0                                // 0000000053DC: 20080085
	v_xor_b32_e32 v5, 1, v4                                    // 0000000053E0: 2A0A0881
	s_mul_i32 s60, s65, 2                                      // 0000000053E4: 923C8241
	s_cmp_eq_u32 s88, 0                                        // 0000000053E8: BF068058
	s_cselect_b32 s61, 1, 4                                    // 0000000053EC: 853D8481
	s_mul_i32 s60, s61, s60                                    // 0000000053F0: 923C3C3D
	v_readlane_b32 s82, v3, 0                                  // 0000000053F4: D2890052 00010103
	s_lshr_b32 s61, s82, 24                                    // 0000000053FC: 8F3D9852
	s_and_b32 s82, s82, 0xffffff                               // 000000005400: 8652FF52 00FFFFFF
	s_mul_i32 s82, s82, s71                                    // 000000005408: 92524752
	s_mul_i32 s61, s60, s61                                    // 00000000540C: 923D3D3C
	s_add_u32 s82, s82, s61                                    // 000000005410: 80523D52
	v_mul_lo_u32 v6, v5, s82                                   // 000000005414: D2850006 0000A505
	v_readlane_b32 s82, v3, 1                                  // 00000000541C: D2890052 00010303
	s_lshr_b32 s61, s82, 24                                    // 000000005424: 8F3D9852
	s_and_b32 s82, s82, 0xffffff                               // 000000005428: 8652FF52 00FFFFFF
	s_mul_i32 s82, s82, s71                                    // 000000005430: 92524752
	s_mul_i32 s61, s60, s61                                    // 000000005434: 923D3D3C
	s_add_u32 s82, s82, s61                                    // 000000005438: 80523D52
	v_mul_lo_u32 v7, v4, s82                                   // 00000000543C: D2850007 0000A504
	v_add_u32_e32 v64, v6, v7                                  // 000000005444: 68800F06
	v_readlane_b32 s82, v3, 2                                  // 000000005448: D2890052 00010503
	s_lshr_b32 s61, s82, 24                                    // 000000005450: 8F3D9852
	s_and_b32 s82, s82, 0xffffff                               // 000000005454: 8652FF52 00FFFFFF
	s_mul_i32 s82, s82, s71                                    // 00000000545C: 92524752
	s_mul_i32 s61, s60, s61                                    // 000000005460: 923D3D3C
	s_add_u32 s82, s82, s61                                    // 000000005464: 80523D52
	v_mul_lo_u32 v6, v5, s82                                   // 000000005468: D2850006 0000A505
	v_readlane_b32 s82, v3, 3                                  // 000000005470: D2890052 00010703
	s_lshr_b32 s61, s82, 24                                    // 000000005478: 8F3D9852
	s_and_b32 s82, s82, 0xffffff                               // 00000000547C: 8652FF52 00FFFFFF
	s_mul_i32 s82, s82, s71                                    // 000000005484: 92524752
	s_mul_i32 s61, s60, s61                                    // 000000005488: 923D3D3C
	s_add_u32 s82, s82, s61                                    // 00000000548C: 80523D52
	v_mul_lo_u32 v7, v4, s82                                   // 000000005490: D2850007 0000A504
	v_add_u32_e32 v65, v6, v7                                  // 000000005498: 68820F06
	v_readlane_b32 s82, v3, 4                                  // 00000000549C: D2890052 00010903
	s_lshr_b32 s61, s82, 24                                    // 0000000054A4: 8F3D9852
	s_and_b32 s82, s82, 0xffffff                               // 0000000054A8: 8652FF52 00FFFFFF
	s_mul_i32 s82, s82, s71                                    // 0000000054B0: 92524752
	s_mul_i32 s61, s60, s61                                    // 0000000054B4: 923D3D3C
	s_add_u32 s82, s82, s61                                    // 0000000054B8: 80523D52
	v_mul_lo_u32 v6, v5, s82                                   // 0000000054BC: D2850006 0000A505
	v_readlane_b32 s82, v3, 5                                  // 0000000054C4: D2890052 00010B03
	s_lshr_b32 s61, s82, 24                                    // 0000000054CC: 8F3D9852
	s_and_b32 s82, s82, 0xffffff                               // 0000000054D0: 8652FF52 00FFFFFF
	s_mul_i32 s82, s82, s71                                    // 0000000054D8: 92524752
	s_mul_i32 s61, s60, s61                                    // 0000000054DC: 923D3D3C
	s_add_u32 s82, s82, s61                                    // 0000000054E0: 80523D52
	v_mul_lo_u32 v7, v4, s82                                   // 0000000054E4: D2850007 0000A504
	v_add_u32_e32 v66, v6, v7                                  // 0000000054EC: 68840F06
	v_readlane_b32 s82, v3, 6                                  // 0000000054F0: D2890052 00010D03
	s_lshr_b32 s61, s82, 24                                    // 0000000054F8: 8F3D9852
	s_and_b32 s82, s82, 0xffffff                               // 0000000054FC: 8652FF52 00FFFFFF
	s_mul_i32 s82, s82, s71                                    // 000000005504: 92524752
	s_mul_i32 s61, s60, s61                                    // 000000005508: 923D3D3C
	s_add_u32 s82, s82, s61                                    // 00000000550C: 80523D52
	v_mul_lo_u32 v6, v5, s82                                   // 000000005510: D2850006 0000A505
	v_readlane_b32 s82, v3, 7                                  // 000000005518: D2890052 00010F03
	s_lshr_b32 s61, s82, 24                                    // 000000005520: 8F3D9852
	s_and_b32 s82, s82, 0xffffff                               // 000000005524: 8652FF52 00FFFFFF
	s_mul_i32 s82, s82, s71                                    // 00000000552C: 92524752
	s_mul_i32 s61, s60, s61                                    // 000000005530: 923D3D3C
	s_add_u32 s82, s82, s61                                    // 000000005534: 80523D52
	v_mul_lo_u32 v7, v4, s82                                   // 000000005538: D2850007 0000A504
	v_add_u32_e32 v67, v6, v7                                  // 000000005540: 68860F06
	v_readlane_b32 s82, v3, 8                                  // 000000005544: D2890052 00011103
	s_lshr_b32 s61, s82, 24                                    // 00000000554C: 8F3D9852
	s_and_b32 s82, s82, 0xffffff                               // 000000005550: 8652FF52 00FFFFFF
	s_mul_i32 s82, s82, s71                                    // 000000005558: 92524752
	s_mul_i32 s61, s60, s61                                    // 00000000555C: 923D3D3C
	s_add_u32 s82, s82, s61                                    // 000000005560: 80523D52
	v_mul_lo_u32 v6, v5, s82                                   // 000000005564: D2850006 0000A505
	v_readlane_b32 s82, v3, 9                                  // 00000000556C: D2890052 00011303
	s_lshr_b32 s61, s82, 24                                    // 000000005574: 8F3D9852
	s_and_b32 s82, s82, 0xffffff                               // 000000005578: 8652FF52 00FFFFFF
	s_mul_i32 s82, s82, s71                                    // 000000005580: 92524752
	s_mul_i32 s61, s60, s61                                    // 000000005584: 923D3D3C
	s_add_u32 s82, s82, s61                                    // 000000005588: 80523D52
	v_mul_lo_u32 v7, v4, s82                                   // 00000000558C: D2850007 0000A504
	v_add_u32_e32 v68, v6, v7                                  // 000000005594: 68880F06
	v_readlane_b32 s82, v3, 10                                 // 000000005598: D2890052 00011503
	s_lshr_b32 s61, s82, 24                                    // 0000000055A0: 8F3D9852
	s_and_b32 s82, s82, 0xffffff                               // 0000000055A4: 8652FF52 00FFFFFF
	s_mul_i32 s82, s82, s71                                    // 0000000055AC: 92524752
	s_mul_i32 s61, s60, s61                                    // 0000000055B0: 923D3D3C
	s_add_u32 s82, s82, s61                                    // 0000000055B4: 80523D52
	v_mul_lo_u32 v6, v5, s82                                   // 0000000055B8: D2850006 0000A505
	v_readlane_b32 s82, v3, 11                                 // 0000000055C0: D2890052 00011703
	s_lshr_b32 s61, s82, 24                                    // 0000000055C8: 8F3D9852
	s_and_b32 s82, s82, 0xffffff                               // 0000000055CC: 8652FF52 00FFFFFF
	s_mul_i32 s82, s82, s71                                    // 0000000055D4: 92524752
	s_mul_i32 s61, s60, s61                                    // 0000000055D8: 923D3D3C
	s_add_u32 s82, s82, s61                                    // 0000000055DC: 80523D52
	v_mul_lo_u32 v7, v4, s82                                   // 0000000055E0: D2850007 0000A504
	v_add_u32_e32 v69, v6, v7                                  // 0000000055E8: 688A0F06
	v_readlane_b32 s82, v3, 12                                 // 0000000055EC: D2890052 00011903
	s_lshr_b32 s61, s82, 24                                    // 0000000055F4: 8F3D9852
	s_and_b32 s82, s82, 0xffffff                               // 0000000055F8: 8652FF52 00FFFFFF
	s_mul_i32 s82, s82, s71                                    // 000000005600: 92524752
	s_mul_i32 s61, s60, s61                                    // 000000005604: 923D3D3C
	s_add_u32 s82, s82, s61                                    // 000000005608: 80523D52
	v_mul_lo_u32 v6, v5, s82                                   // 00000000560C: D2850006 0000A505
	v_readlane_b32 s82, v3, 13                                 // 000000005614: D2890052 00011B03
	s_lshr_b32 s61, s82, 24                                    // 00000000561C: 8F3D9852
	s_and_b32 s82, s82, 0xffffff                               // 000000005620: 8652FF52 00FFFFFF
	s_mul_i32 s82, s82, s71                                    // 000000005628: 92524752
	s_mul_i32 s61, s60, s61                                    // 00000000562C: 923D3D3C
	s_add_u32 s82, s82, s61                                    // 000000005630: 80523D52
	v_mul_lo_u32 v7, v4, s82                                   // 000000005634: D2850007 0000A504
	v_add_u32_e32 v70, v6, v7                                  // 00000000563C: 688C0F06
	v_readlane_b32 s82, v3, 14                                 // 000000005640: D2890052 00011D03
	s_lshr_b32 s61, s82, 24                                    // 000000005648: 8F3D9852
	s_and_b32 s82, s82, 0xffffff                               // 00000000564C: 8652FF52 00FFFFFF
	s_mul_i32 s82, s82, s71                                    // 000000005654: 92524752
	s_mul_i32 s61, s60, s61                                    // 000000005658: 923D3D3C
	s_add_u32 s82, s82, s61                                    // 00000000565C: 80523D52
	v_mul_lo_u32 v6, v5, s82                                   // 000000005660: D2850006 0000A505
	v_readlane_b32 s82, v3, 15                                 // 000000005668: D2890052 00011F03
	s_lshr_b32 s61, s82, 24                                    // 000000005670: 8F3D9852
	s_and_b32 s82, s82, 0xffffff                               // 000000005674: 8652FF52 00FFFFFF
	s_mul_i32 s82, s82, s71                                    // 00000000567C: 92524752
	s_mul_i32 s61, s60, s61                                    // 000000005680: 923D3D3C
	s_add_u32 s82, s82, s61                                    // 000000005684: 80523D52
	v_mul_lo_u32 v7, v4, s82                                   // 000000005688: D2850007 0000A504
	v_add_u32_e32 v71, v6, v7                                  // 000000005690: 688E0F06
	v_readlane_b32 s82, v3, 16                                 // 000000005694: D2890052 00012103
	s_lshr_b32 s61, s82, 24                                    // 00000000569C: 8F3D9852
	s_and_b32 s82, s82, 0xffffff                               // 0000000056A0: 8652FF52 00FFFFFF
	s_mul_i32 s82, s82, s71                                    // 0000000056A8: 92524752
	s_mul_i32 s61, s60, s61                                    // 0000000056AC: 923D3D3C
	s_add_u32 s82, s82, s61                                    // 0000000056B0: 80523D52
	v_mul_lo_u32 v6, v5, s82                                   // 0000000056B4: D2850006 0000A505
	v_readlane_b32 s82, v3, 17                                 // 0000000056BC: D2890052 00012303
	s_lshr_b32 s61, s82, 24                                    // 0000000056C4: 8F3D9852
	s_and_b32 s82, s82, 0xffffff                               // 0000000056C8: 8652FF52 00FFFFFF
	s_mul_i32 s82, s82, s71                                    // 0000000056D0: 92524752
	s_mul_i32 s61, s60, s61                                    // 0000000056D4: 923D3D3C
	s_add_u32 s82, s82, s61                                    // 0000000056D8: 80523D52
	v_mul_lo_u32 v7, v4, s82                                   // 0000000056DC: D2850007 0000A504
	v_add_u32_e32 v72, v6, v7                                  // 0000000056E4: 68900F06
	v_readlane_b32 s82, v3, 18                                 // 0000000056E8: D2890052 00012503
	s_lshr_b32 s61, s82, 24                                    // 0000000056F0: 8F3D9852
	s_and_b32 s82, s82, 0xffffff                               // 0000000056F4: 8652FF52 00FFFFFF
	s_mul_i32 s82, s82, s71                                    // 0000000056FC: 92524752
	s_mul_i32 s61, s60, s61                                    // 000000005700: 923D3D3C
	s_add_u32 s82, s82, s61                                    // 000000005704: 80523D52
	v_mul_lo_u32 v6, v5, s82                                   // 000000005708: D2850006 0000A505
	v_readlane_b32 s82, v3, 19                                 // 000000005710: D2890052 00012703
	s_lshr_b32 s61, s82, 24                                    // 000000005718: 8F3D9852
	s_and_b32 s82, s82, 0xffffff                               // 00000000571C: 8652FF52 00FFFFFF
	s_mul_i32 s82, s82, s71                                    // 000000005724: 92524752
	s_mul_i32 s61, s60, s61                                    // 000000005728: 923D3D3C
	s_add_u32 s82, s82, s61                                    // 00000000572C: 80523D52
	v_mul_lo_u32 v7, v4, s82                                   // 000000005730: D2850007 0000A504
	v_add_u32_e32 v73, v6, v7                                  // 000000005738: 68920F06
	v_readlane_b32 s82, v3, 20                                 // 00000000573C: D2890052 00012903
	s_lshr_b32 s61, s82, 24                                    // 000000005744: 8F3D9852
	s_and_b32 s82, s82, 0xffffff                               // 000000005748: 8652FF52 00FFFFFF
	s_mul_i32 s82, s82, s71                                    // 000000005750: 92524752
	s_mul_i32 s61, s60, s61                                    // 000000005754: 923D3D3C
	s_add_u32 s82, s82, s61                                    // 000000005758: 80523D52
	v_mul_lo_u32 v6, v5, s82                                   // 00000000575C: D2850006 0000A505
	v_readlane_b32 s82, v3, 21                                 // 000000005764: D2890052 00012B03
	s_lshr_b32 s61, s82, 24                                    // 00000000576C: 8F3D9852
	s_and_b32 s82, s82, 0xffffff                               // 000000005770: 8652FF52 00FFFFFF
	s_mul_i32 s82, s82, s71                                    // 000000005778: 92524752
	s_mul_i32 s61, s60, s61                                    // 00000000577C: 923D3D3C
	s_add_u32 s82, s82, s61                                    // 000000005780: 80523D52
	v_mul_lo_u32 v7, v4, s82                                   // 000000005784: D2850007 0000A504
	v_add_u32_e32 v74, v6, v7                                  // 00000000578C: 68940F06
	v_readlane_b32 s82, v3, 22                                 // 000000005790: D2890052 00012D03
	s_lshr_b32 s61, s82, 24                                    // 000000005798: 8F3D9852
	s_and_b32 s82, s82, 0xffffff                               // 00000000579C: 8652FF52 00FFFFFF
	s_mul_i32 s82, s82, s71                                    // 0000000057A4: 92524752
	s_mul_i32 s61, s60, s61                                    // 0000000057A8: 923D3D3C
	s_add_u32 s82, s82, s61                                    // 0000000057AC: 80523D52
	v_mul_lo_u32 v6, v5, s82                                   // 0000000057B0: D2850006 0000A505
	v_readlane_b32 s82, v3, 23                                 // 0000000057B8: D2890052 00012F03
	s_lshr_b32 s61, s82, 24                                    // 0000000057C0: 8F3D9852
	s_and_b32 s82, s82, 0xffffff                               // 0000000057C4: 8652FF52 00FFFFFF
	s_mul_i32 s82, s82, s71                                    // 0000000057CC: 92524752
	s_mul_i32 s61, s60, s61                                    // 0000000057D0: 923D3D3C
	s_add_u32 s82, s82, s61                                    // 0000000057D4: 80523D52
	v_mul_lo_u32 v7, v4, s82                                   // 0000000057D8: D2850007 0000A504
	v_add_u32_e32 v75, v6, v7                                  // 0000000057E0: 68960F06
	v_readlane_b32 s82, v3, 24                                 // 0000000057E4: D2890052 00013103
	s_lshr_b32 s61, s82, 24                                    // 0000000057EC: 8F3D9852
	s_and_b32 s82, s82, 0xffffff                               // 0000000057F0: 8652FF52 00FFFFFF
	s_mul_i32 s82, s82, s71                                    // 0000000057F8: 92524752
	s_mul_i32 s61, s60, s61                                    // 0000000057FC: 923D3D3C
	s_add_u32 s82, s82, s61                                    // 000000005800: 80523D52
	v_mul_lo_u32 v6, v5, s82                                   // 000000005804: D2850006 0000A505
	v_readlane_b32 s82, v3, 25                                 // 00000000580C: D2890052 00013303
	s_lshr_b32 s61, s82, 24                                    // 000000005814: 8F3D9852
	s_and_b32 s82, s82, 0xffffff                               // 000000005818: 8652FF52 00FFFFFF
	s_mul_i32 s82, s82, s71                                    // 000000005820: 92524752
	s_mul_i32 s61, s60, s61                                    // 000000005824: 923D3D3C
	s_add_u32 s82, s82, s61                                    // 000000005828: 80523D52
	v_mul_lo_u32 v7, v4, s82                                   // 00000000582C: D2850007 0000A504
	v_add_u32_e32 v76, v6, v7                                  // 000000005834: 68980F06
	v_readlane_b32 s82, v3, 26                                 // 000000005838: D2890052 00013503
	s_lshr_b32 s61, s82, 24                                    // 000000005840: 8F3D9852
	s_and_b32 s82, s82, 0xffffff                               // 000000005844: 8652FF52 00FFFFFF
	s_mul_i32 s82, s82, s71                                    // 00000000584C: 92524752
	s_mul_i32 s61, s60, s61                                    // 000000005850: 923D3D3C
	s_add_u32 s82, s82, s61                                    // 000000005854: 80523D52
	v_mul_lo_u32 v6, v5, s82                                   // 000000005858: D2850006 0000A505
	v_readlane_b32 s82, v3, 27                                 // 000000005860: D2890052 00013703
	s_lshr_b32 s61, s82, 24                                    // 000000005868: 8F3D9852
	s_and_b32 s82, s82, 0xffffff                               // 00000000586C: 8652FF52 00FFFFFF
	s_mul_i32 s82, s82, s71                                    // 000000005874: 92524752
	s_mul_i32 s61, s60, s61                                    // 000000005878: 923D3D3C
	s_add_u32 s82, s82, s61                                    // 00000000587C: 80523D52
	v_mul_lo_u32 v7, v4, s82                                   // 000000005880: D2850007 0000A504
	v_add_u32_e32 v77, v6, v7                                  // 000000005888: 689A0F06
	v_readlane_b32 s82, v3, 28                                 // 00000000588C: D2890052 00013903
	s_lshr_b32 s61, s82, 24                                    // 000000005894: 8F3D9852
	s_and_b32 s82, s82, 0xffffff                               // 000000005898: 8652FF52 00FFFFFF
	s_mul_i32 s82, s82, s71                                    // 0000000058A0: 92524752
	s_mul_i32 s61, s60, s61                                    // 0000000058A4: 923D3D3C
	s_add_u32 s82, s82, s61                                    // 0000000058A8: 80523D52
	v_mul_lo_u32 v6, v5, s82                                   // 0000000058AC: D2850006 0000A505
	v_readlane_b32 s82, v3, 29                                 // 0000000058B4: D2890052 00013B03
	s_lshr_b32 s61, s82, 24                                    // 0000000058BC: 8F3D9852
	s_and_b32 s82, s82, 0xffffff                               // 0000000058C0: 8652FF52 00FFFFFF
	s_mul_i32 s82, s82, s71                                    // 0000000058C8: 92524752
	s_mul_i32 s61, s60, s61                                    // 0000000058CC: 923D3D3C
	s_add_u32 s82, s82, s61                                    // 0000000058D0: 80523D52
	v_mul_lo_u32 v7, v4, s82                                   // 0000000058D4: D2850007 0000A504
	v_add_u32_e32 v78, v6, v7                                  // 0000000058DC: 689C0F06
	v_readlane_b32 s82, v3, 30                                 // 0000000058E0: D2890052 00013D03
	s_lshr_b32 s61, s82, 24                                    // 0000000058E8: 8F3D9852
	s_and_b32 s82, s82, 0xffffff                               // 0000000058EC: 8652FF52 00FFFFFF
	s_mul_i32 s82, s82, s71                                    // 0000000058F4: 92524752
	s_mul_i32 s61, s60, s61                                    // 0000000058F8: 923D3D3C
	s_add_u32 s82, s82, s61                                    // 0000000058FC: 80523D52
	v_mul_lo_u32 v6, v5, s82                                   // 000000005900: D2850006 0000A505
	v_readlane_b32 s82, v3, 31                                 // 000000005908: D2890052 00013F03
	s_lshr_b32 s61, s82, 24                                    // 000000005910: 8F3D9852
	s_and_b32 s82, s82, 0xffffff                               // 000000005914: 8652FF52 00FFFFFF
	s_mul_i32 s82, s82, s71                                    // 00000000591C: 92524752
	s_mul_i32 s61, s60, s61                                    // 000000005920: 923D3D3C
	s_add_u32 s82, s82, s61                                    // 000000005924: 80523D52
	v_mul_lo_u32 v7, v4, s82                                   // 000000005928: D2850007 0000A504
	v_add_u32_e32 v79, v6, v7                                  // 000000005930: 689E0F06
	v_readlane_b32 s82, v3, 32                                 // 000000005934: D2890052 00014103
	s_lshr_b32 s61, s82, 24                                    // 00000000593C: 8F3D9852
	s_and_b32 s82, s82, 0xffffff                               // 000000005940: 8652FF52 00FFFFFF
	s_mul_i32 s82, s82, s71                                    // 000000005948: 92524752
	s_mul_i32 s61, s60, s61                                    // 00000000594C: 923D3D3C
	s_add_u32 s82, s82, s61                                    // 000000005950: 80523D52
	v_mul_lo_u32 v6, v5, s82                                   // 000000005954: D2850006 0000A505
	v_readlane_b32 s82, v3, 33                                 // 00000000595C: D2890052 00014303
	s_lshr_b32 s61, s82, 24                                    // 000000005964: 8F3D9852
	s_and_b32 s82, s82, 0xffffff                               // 000000005968: 8652FF52 00FFFFFF
	s_mul_i32 s82, s82, s71                                    // 000000005970: 92524752
	s_mul_i32 s61, s60, s61                                    // 000000005974: 923D3D3C
	s_add_u32 s82, s82, s61                                    // 000000005978: 80523D52
	v_mul_lo_u32 v7, v4, s82                                   // 00000000597C: D2850007 0000A504
	v_add_u32_e32 v80, v6, v7                                  // 000000005984: 68A00F06
	v_readlane_b32 s82, v3, 34                                 // 000000005988: D2890052 00014503
	s_lshr_b32 s61, s82, 24                                    // 000000005990: 8F3D9852
	s_and_b32 s82, s82, 0xffffff                               // 000000005994: 8652FF52 00FFFFFF
	s_mul_i32 s82, s82, s71                                    // 00000000599C: 92524752
	s_mul_i32 s61, s60, s61                                    // 0000000059A0: 923D3D3C
	s_add_u32 s82, s82, s61                                    // 0000000059A4: 80523D52
	v_mul_lo_u32 v6, v5, s82                                   // 0000000059A8: D2850006 0000A505
	v_readlane_b32 s82, v3, 35                                 // 0000000059B0: D2890052 00014703
	s_lshr_b32 s61, s82, 24                                    // 0000000059B8: 8F3D9852
	s_and_b32 s82, s82, 0xffffff                               // 0000000059BC: 8652FF52 00FFFFFF
	s_mul_i32 s82, s82, s71                                    // 0000000059C4: 92524752
	s_mul_i32 s61, s60, s61                                    // 0000000059C8: 923D3D3C
	s_add_u32 s82, s82, s61                                    // 0000000059CC: 80523D52
	v_mul_lo_u32 v7, v4, s82                                   // 0000000059D0: D2850007 0000A504
	v_add_u32_e32 v81, v6, v7                                  // 0000000059D8: 68A20F06
	v_and_b32_e32 v4, 31, v0                                   // 0000000059DC: 2608009F
	v_lshrrev_b32_e32 v4, 1, v4                                // 0000000059E0: 20080881
	s_cmp_eq_u32 s88, 0                                        // 0000000059E4: BF068058
	s_cselect_b32 s61, 2, 4                                    // 0000000059E8: 853D8482
	v_mul_lo_u32 v4, v4, s61                                   // 0000000059EC: D2850004 00007B04
	v_and_b32_e64 v5, v0, 1                                    // 0000000059F4: D1130005 00010300
	v_add_u32_e32 v4, v4, v5                                   // 0000000059FC: 68080B04
	v_lshlrev_b32_e32 v4, 2, v4                                // 000000005A00: 24080882
	v_add_u32_e32 v64, v64, v4                                 // 000000005A04: 68800940
	v_add_u32_e32 v65, v65, v4                                 // 000000005A08: 68820941
	v_add_u32_e32 v66, v66, v4                                 // 000000005A0C: 68840942
	v_add_u32_e32 v67, v67, v4                                 // 000000005A10: 68860943
	v_add_u32_e32 v68, v68, v4                                 // 000000005A14: 68880944
	v_add_u32_e32 v69, v69, v4                                 // 000000005A18: 688A0945
	v_add_u32_e32 v70, v70, v4                                 // 000000005A1C: 688C0946
	v_add_u32_e32 v71, v71, v4                                 // 000000005A20: 688E0947
	v_add_u32_e32 v72, v72, v4                                 // 000000005A24: 68900948
	v_add_u32_e32 v73, v73, v4                                 // 000000005A28: 68920949
	v_add_u32_e32 v74, v74, v4                                 // 000000005A2C: 6894094A
	v_add_u32_e32 v75, v75, v4                                 // 000000005A30: 6896094B
	v_add_u32_e32 v76, v76, v4                                 // 000000005A34: 6898094C
	v_add_u32_e32 v77, v77, v4                                 // 000000005A38: 689A094D
	v_add_u32_e32 v78, v78, v4                                 // 000000005A3C: 689C094E
	v_add_u32_e32 v79, v79, v4                                 // 000000005A40: 689E094F
	v_add_u32_e32 v80, v80, v4                                 // 000000005A44: 68A00950
	v_add_u32_e32 v81, v81, v4                                 // 000000005A48: 68A20951
	s_waitcnt lgkmcnt(0)                                       // 000000005A4C: BF8CC07F
	s_barrier                                                  // 000000005A50: BF8A0000
	ds_read_b32 v84, v21                                       // 000000005A54: D86C0000 54000015
	ds_read_b32 v85, v21 offset:64                             // 000000005A5C: D86C0040 55000015
	ds_read_b32 v86, v21 offset:2176                           // 000000005A64: D86C0880 56000015
	ds_read_b32 v87, v21 offset:2240                           // 000000005A6C: D86C08C0 57000015
	ds_read_b32 v88, v21 offset:4352                           // 000000005A74: D86C1100 58000015
	ds_read_b32 v89, v21 offset:4416                           // 000000005A7C: D86C1140 59000015
	ds_read_b32 v90, v21 offset:6528                           // 000000005A84: D86C1980 5A000015
	ds_read_b32 v91, v21 offset:6592                           // 000000005A8C: D86C19C0 5B000015
	ds_read_b32 v92, v21 offset:8704                           // 000000005A94: D86C2200 5C000015
	ds_read_b32 v93, v21 offset:8768                           // 000000005A9C: D86C2240 5D000015
	ds_read_b32 v94, v21 offset:10880                          // 000000005AA4: D86C2A80 5E000015
	ds_read_b32 v95, v21 offset:10944                          // 000000005AAC: D86C2AC0 5F000015
	ds_read_b32 v96, v21 offset:13056                          // 000000005AB4: D86C3300 60000015
	ds_read_b32 v97, v21 offset:13120                          // 000000005ABC: D86C3340 61000015
	ds_read_b32 v98, v21 offset:15232                          // 000000005AC4: D86C3B80 62000015
	ds_read_b32 v99, v21 offset:15296                          // 000000005ACC: D86C3BC0 63000015
	ds_read_b32 v100, v21 offset:17408                         // 000000005AD4: D86C4400 64000015
	ds_read_b32 v101, v21 offset:17472                         // 000000005ADC: D86C4440 65000015
	s_waitcnt lgkmcnt(0)                                       // 000000005AE4: BF8CC07F
	s_mov_b32 s36, -1                                          // 000000005AE8: BEA400C1
	s_mov_b32 s37, -1                                          // 000000005AEC: BEA500C1
	v_mov_b32_e32 v7, 0                                        // 000000005AF0: 7E0E0280
	s_or_b32 s9, s9, 0x40000                                   // 000000005AF4: 8709FF09 00040000
	s_mov_b64 exec, s[36:37]                                   // 000000005AFC: BEFE0124
	v_mov_b32_e32 v6, v64                                      // 000000005B00: 7E0C0340
	s_mov_b64 s[60:61], 0                                      // 000000005B04: BEBC0180
	v_readlane_b32 s82, v3, 0                                  // 000000005B08: D2890052 00010103
	s_and_b32 s82, s82, 0xffffff                               // 000000005B10: 8652FF52 00FFFFFF
	s_cmp_lt_u32 s82, s66                                      // 000000005B18: BF0A4252
	s_cselect_b32 s20, s36, s60                                // 000000005B1C: 85143C24
	v_readlane_b32 s82, v3, 1                                  // 000000005B20: D2890052 00010303
	s_and_b32 s82, s82, 0xffffff                               // 000000005B28: 8652FF52 00FFFFFF
	s_cmp_lt_u32 s82, s66                                      // 000000005B30: BF0A4252
	s_cselect_b32 s21, s36, s60                                // 000000005B34: 85153C24
	s_mov_b64 exec, s[20:21]                                   // 000000005B38: BEFE0114
	buffer_store_dword v84, v6, s[8:11], 0 offen               // 000000005B3C: E0701000 80025406
	s_mov_b64 exec, s[36:37]                                   // 000000005B44: BEFE0124
	v_mov_b32_e32 v6, v65                                      // 000000005B48: 7E0C0341
	s_mov_b64 s[60:61], 0                                      // 000000005B4C: BEBC0180
	v_readlane_b32 s82, v3, 2                                  // 000000005B50: D2890052 00010503
	s_and_b32 s82, s82, 0xffffff                               // 000000005B58: 8652FF52 00FFFFFF
	s_cmp_lt_u32 s82, s66                                      // 000000005B60: BF0A4252
	s_cselect_b32 s20, s36, s60                                // 000000005B64: 85143C24
	v_readlane_b32 s82, v3, 3                                  // 000000005B68: D2890052 00010703
	s_and_b32 s82, s82, 0xffffff                               // 000000005B70: 8652FF52 00FFFFFF
	s_cmp_lt_u32 s82, s66                                      // 000000005B78: BF0A4252
	s_cselect_b32 s21, s36, s60                                // 000000005B7C: 85153C24
	s_mov_b64 exec, s[20:21]                                   // 000000005B80: BEFE0114
	buffer_store_dword v85, v6, s[8:11], 0 offen               // 000000005B84: E0701000 80025506
	s_mov_b64 exec, s[36:37]                                   // 000000005B8C: BEFE0124
	v_mov_b32_e32 v6, v66                                      // 000000005B90: 7E0C0342
	s_mov_b64 s[60:61], 0                                      // 000000005B94: BEBC0180
	v_readlane_b32 s82, v3, 4                                  // 000000005B98: D2890052 00010903
	s_and_b32 s82, s82, 0xffffff                               // 000000005BA0: 8652FF52 00FFFFFF
	s_cmp_lt_u32 s82, s66                                      // 000000005BA8: BF0A4252
	s_cselect_b32 s20, s36, s60                                // 000000005BAC: 85143C24
	v_readlane_b32 s82, v3, 5                                  // 000000005BB0: D2890052 00010B03
	s_and_b32 s82, s82, 0xffffff                               // 000000005BB8: 8652FF52 00FFFFFF
	s_cmp_lt_u32 s82, s66                                      // 000000005BC0: BF0A4252
	s_cselect_b32 s21, s36, s60                                // 000000005BC4: 85153C24
	s_mov_b64 exec, s[20:21]                                   // 000000005BC8: BEFE0114
	buffer_store_dword v86, v6, s[8:11], 0 offen               // 000000005BCC: E0701000 80025606
	s_mov_b64 exec, s[36:37]                                   // 000000005BD4: BEFE0124
	v_mov_b32_e32 v6, v67                                      // 000000005BD8: 7E0C0343
	s_mov_b64 s[60:61], 0                                      // 000000005BDC: BEBC0180
	v_readlane_b32 s82, v3, 6                                  // 000000005BE0: D2890052 00010D03
	s_and_b32 s82, s82, 0xffffff                               // 000000005BE8: 8652FF52 00FFFFFF
	s_cmp_lt_u32 s82, s66                                      // 000000005BF0: BF0A4252
	s_cselect_b32 s20, s36, s60                                // 000000005BF4: 85143C24
	v_readlane_b32 s82, v3, 7                                  // 000000005BF8: D2890052 00010F03
	s_and_b32 s82, s82, 0xffffff                               // 000000005C00: 8652FF52 00FFFFFF
	s_cmp_lt_u32 s82, s66                                      // 000000005C08: BF0A4252
	s_cselect_b32 s21, s36, s60                                // 000000005C0C: 85153C24
	s_mov_b64 exec, s[20:21]                                   // 000000005C10: BEFE0114
	buffer_store_dword v87, v6, s[8:11], 0 offen               // 000000005C14: E0701000 80025706
	s_mov_b64 exec, s[36:37]                                   // 000000005C1C: BEFE0124
	v_mov_b32_e32 v6, v68                                      // 000000005C20: 7E0C0344
	s_mov_b64 s[60:61], 0                                      // 000000005C24: BEBC0180
	v_readlane_b32 s82, v3, 8                                  // 000000005C28: D2890052 00011103
	s_and_b32 s82, s82, 0xffffff                               // 000000005C30: 8652FF52 00FFFFFF
	s_cmp_lt_u32 s82, s66                                      // 000000005C38: BF0A4252
	s_cselect_b32 s20, s36, s60                                // 000000005C3C: 85143C24
	v_readlane_b32 s82, v3, 9                                  // 000000005C40: D2890052 00011303
	s_and_b32 s82, s82, 0xffffff                               // 000000005C48: 8652FF52 00FFFFFF
	s_cmp_lt_u32 s82, s66                                      // 000000005C50: BF0A4252
	s_cselect_b32 s21, s36, s60                                // 000000005C54: 85153C24
	s_mov_b64 exec, s[20:21]                                   // 000000005C58: BEFE0114
	buffer_store_dword v88, v6, s[8:11], 0 offen               // 000000005C5C: E0701000 80025806
	s_mov_b64 exec, s[36:37]                                   // 000000005C64: BEFE0124
	v_mov_b32_e32 v6, v69                                      // 000000005C68: 7E0C0345
	s_mov_b64 s[60:61], 0                                      // 000000005C6C: BEBC0180
	v_readlane_b32 s82, v3, 10                                 // 000000005C70: D2890052 00011503
	s_and_b32 s82, s82, 0xffffff                               // 000000005C78: 8652FF52 00FFFFFF
	s_cmp_lt_u32 s82, s66                                      // 000000005C80: BF0A4252
	s_cselect_b32 s20, s36, s60                                // 000000005C84: 85143C24
	v_readlane_b32 s82, v3, 11                                 // 000000005C88: D2890052 00011703
	s_and_b32 s82, s82, 0xffffff                               // 000000005C90: 8652FF52 00FFFFFF
	s_cmp_lt_u32 s82, s66                                      // 000000005C98: BF0A4252
	s_cselect_b32 s21, s36, s60                                // 000000005C9C: 85153C24
	s_mov_b64 exec, s[20:21]                                   // 000000005CA0: BEFE0114
	buffer_store_dword v89, v6, s[8:11], 0 offen               // 000000005CA4: E0701000 80025906
	s_mov_b64 exec, s[36:37]                                   // 000000005CAC: BEFE0124
	v_mov_b32_e32 v6, v70                                      // 000000005CB0: 7E0C0346
	s_mov_b64 s[60:61], 0                                      // 000000005CB4: BEBC0180
	v_readlane_b32 s82, v3, 12                                 // 000000005CB8: D2890052 00011903
	s_and_b32 s82, s82, 0xffffff                               // 000000005CC0: 8652FF52 00FFFFFF
	s_cmp_lt_u32 s82, s66                                      // 000000005CC8: BF0A4252
	s_cselect_b32 s20, s36, s60                                // 000000005CCC: 85143C24
	v_readlane_b32 s82, v3, 13                                 // 000000005CD0: D2890052 00011B03
	s_and_b32 s82, s82, 0xffffff                               // 000000005CD8: 8652FF52 00FFFFFF
	s_cmp_lt_u32 s82, s66                                      // 000000005CE0: BF0A4252
	s_cselect_b32 s21, s36, s60                                // 000000005CE4: 85153C24
	s_mov_b64 exec, s[20:21]                                   // 000000005CE8: BEFE0114
	buffer_store_dword v90, v6, s[8:11], 0 offen               // 000000005CEC: E0701000 80025A06
	s_mov_b64 exec, s[36:37]                                   // 000000005CF4: BEFE0124
	v_mov_b32_e32 v6, v71                                      // 000000005CF8: 7E0C0347
	s_mov_b64 s[60:61], 0                                      // 000000005CFC: BEBC0180
	v_readlane_b32 s82, v3, 14                                 // 000000005D00: D2890052 00011D03
	s_and_b32 s82, s82, 0xffffff                               // 000000005D08: 8652FF52 00FFFFFF
	s_cmp_lt_u32 s82, s66                                      // 000000005D10: BF0A4252
	s_cselect_b32 s20, s36, s60                                // 000000005D14: 85143C24
	v_readlane_b32 s82, v3, 15                                 // 000000005D18: D2890052 00011F03
	s_and_b32 s82, s82, 0xffffff                               // 000000005D20: 8652FF52 00FFFFFF
	s_cmp_lt_u32 s82, s66                                      // 000000005D28: BF0A4252
	s_cselect_b32 s21, s36, s60                                // 000000005D2C: 85153C24
	s_mov_b64 exec, s[20:21]                                   // 000000005D30: BEFE0114
	buffer_store_dword v91, v6, s[8:11], 0 offen               // 000000005D34: E0701000 80025B06
	s_mov_b64 exec, s[36:37]                                   // 000000005D3C: BEFE0124
	v_mov_b32_e32 v6, v72                                      // 000000005D40: 7E0C0348
	s_mov_b64 s[60:61], 0                                      // 000000005D44: BEBC0180
	v_readlane_b32 s82, v3, 16                                 // 000000005D48: D2890052 00012103
	s_and_b32 s82, s82, 0xffffff                               // 000000005D50: 8652FF52 00FFFFFF
	s_cmp_lt_u32 s82, s66                                      // 000000005D58: BF0A4252
	s_cselect_b32 s20, s36, s60                                // 000000005D5C: 85143C24
	v_readlane_b32 s82, v3, 17                                 // 000000005D60: D2890052 00012303
	s_and_b32 s82, s82, 0xffffff                               // 000000005D68: 8652FF52 00FFFFFF
	s_cmp_lt_u32 s82, s66                                      // 000000005D70: BF0A4252
	s_cselect_b32 s21, s36, s60                                // 000000005D74: 85153C24
	s_mov_b64 exec, s[20:21]                                   // 000000005D78: BEFE0114
	buffer_store_dword v92, v6, s[8:11], 0 offen               // 000000005D7C: E0701000 80025C06
	s_mov_b64 exec, s[36:37]                                   // 000000005D84: BEFE0124
	v_mov_b32_e32 v6, v73                                      // 000000005D88: 7E0C0349
	s_mov_b64 s[60:61], 0                                      // 000000005D8C: BEBC0180
	v_readlane_b32 s82, v3, 18                                 // 000000005D90: D2890052 00012503
	s_and_b32 s82, s82, 0xffffff                               // 000000005D98: 8652FF52 00FFFFFF
	s_cmp_lt_u32 s82, s66                                      // 000000005DA0: BF0A4252
	s_cselect_b32 s20, s36, s60                                // 000000005DA4: 85143C24
	v_readlane_b32 s82, v3, 19                                 // 000000005DA8: D2890052 00012703
	s_and_b32 s82, s82, 0xffffff                               // 000000005DB0: 8652FF52 00FFFFFF
	s_cmp_lt_u32 s82, s66                                      // 000000005DB8: BF0A4252
	s_cselect_b32 s21, s36, s60                                // 000000005DBC: 85153C24
	s_mov_b64 exec, s[20:21]                                   // 000000005DC0: BEFE0114
	buffer_store_dword v93, v6, s[8:11], 0 offen               // 000000005DC4: E0701000 80025D06
	s_mov_b64 exec, s[36:37]                                   // 000000005DCC: BEFE0124
	v_mov_b32_e32 v6, v74                                      // 000000005DD0: 7E0C034A
	s_mov_b64 s[60:61], 0                                      // 000000005DD4: BEBC0180
	v_readlane_b32 s82, v3, 20                                 // 000000005DD8: D2890052 00012903
	s_and_b32 s82, s82, 0xffffff                               // 000000005DE0: 8652FF52 00FFFFFF
	s_cmp_lt_u32 s82, s66                                      // 000000005DE8: BF0A4252
	s_cselect_b32 s20, s36, s60                                // 000000005DEC: 85143C24
	v_readlane_b32 s82, v3, 21                                 // 000000005DF0: D2890052 00012B03
	s_and_b32 s82, s82, 0xffffff                               // 000000005DF8: 8652FF52 00FFFFFF
	s_cmp_lt_u32 s82, s66                                      // 000000005E00: BF0A4252
	s_cselect_b32 s21, s36, s60                                // 000000005E04: 85153C24
	s_mov_b64 exec, s[20:21]                                   // 000000005E08: BEFE0114
	buffer_store_dword v94, v6, s[8:11], 0 offen               // 000000005E0C: E0701000 80025E06
	s_mov_b64 exec, s[36:37]                                   // 000000005E14: BEFE0124
	v_mov_b32_e32 v6, v75                                      // 000000005E18: 7E0C034B
	s_mov_b64 s[60:61], 0                                      // 000000005E1C: BEBC0180
	v_readlane_b32 s82, v3, 22                                 // 000000005E20: D2890052 00012D03
	s_and_b32 s82, s82, 0xffffff                               // 000000005E28: 8652FF52 00FFFFFF
	s_cmp_lt_u32 s82, s66                                      // 000000005E30: BF0A4252
	s_cselect_b32 s20, s36, s60                                // 000000005E34: 85143C24
	v_readlane_b32 s82, v3, 23                                 // 000000005E38: D2890052 00012F03
	s_and_b32 s82, s82, 0xffffff                               // 000000005E40: 8652FF52 00FFFFFF
	s_cmp_lt_u32 s82, s66                                      // 000000005E48: BF0A4252
	s_cselect_b32 s21, s36, s60                                // 000000005E4C: 85153C24
	s_mov_b64 exec, s[20:21]                                   // 000000005E50: BEFE0114
	buffer_store_dword v95, v6, s[8:11], 0 offen               // 000000005E54: E0701000 80025F06
	s_mov_b64 exec, s[36:37]                                   // 000000005E5C: BEFE0124
	v_mov_b32_e32 v6, v76                                      // 000000005E60: 7E0C034C
	s_mov_b64 s[60:61], 0                                      // 000000005E64: BEBC0180
	v_readlane_b32 s82, v3, 24                                 // 000000005E68: D2890052 00013103
	s_and_b32 s82, s82, 0xffffff                               // 000000005E70: 8652FF52 00FFFFFF
	s_cmp_lt_u32 s82, s66                                      // 000000005E78: BF0A4252
	s_cselect_b32 s20, s36, s60                                // 000000005E7C: 85143C24
	v_readlane_b32 s82, v3, 25                                 // 000000005E80: D2890052 00013303
	s_and_b32 s82, s82, 0xffffff                               // 000000005E88: 8652FF52 00FFFFFF
	s_cmp_lt_u32 s82, s66                                      // 000000005E90: BF0A4252
	s_cselect_b32 s21, s36, s60                                // 000000005E94: 85153C24
	s_mov_b64 exec, s[20:21]                                   // 000000005E98: BEFE0114
	buffer_store_dword v96, v6, s[8:11], 0 offen               // 000000005E9C: E0701000 80026006
	s_mov_b64 exec, s[36:37]                                   // 000000005EA4: BEFE0124
	v_mov_b32_e32 v6, v77                                      // 000000005EA8: 7E0C034D
	s_mov_b64 s[60:61], 0                                      // 000000005EAC: BEBC0180
	v_readlane_b32 s82, v3, 26                                 // 000000005EB0: D2890052 00013503
	s_and_b32 s82, s82, 0xffffff                               // 000000005EB8: 8652FF52 00FFFFFF
	s_cmp_lt_u32 s82, s66                                      // 000000005EC0: BF0A4252
	s_cselect_b32 s20, s36, s60                                // 000000005EC4: 85143C24
	v_readlane_b32 s82, v3, 27                                 // 000000005EC8: D2890052 00013703
	s_and_b32 s82, s82, 0xffffff                               // 000000005ED0: 8652FF52 00FFFFFF
	s_cmp_lt_u32 s82, s66                                      // 000000005ED8: BF0A4252
	s_cselect_b32 s21, s36, s60                                // 000000005EDC: 85153C24
	s_mov_b64 exec, s[20:21]                                   // 000000005EE0: BEFE0114
	buffer_store_dword v97, v6, s[8:11], 0 offen               // 000000005EE4: E0701000 80026106
	s_mov_b64 exec, s[36:37]                                   // 000000005EEC: BEFE0124
	v_mov_b32_e32 v6, v78                                      // 000000005EF0: 7E0C034E
	s_mov_b64 s[60:61], 0                                      // 000000005EF4: BEBC0180
	v_readlane_b32 s82, v3, 28                                 // 000000005EF8: D2890052 00013903
	s_and_b32 s82, s82, 0xffffff                               // 000000005F00: 8652FF52 00FFFFFF
	s_cmp_lt_u32 s82, s66                                      // 000000005F08: BF0A4252
	s_cselect_b32 s20, s36, s60                                // 000000005F0C: 85143C24
	v_readlane_b32 s82, v3, 29                                 // 000000005F10: D2890052 00013B03
	s_and_b32 s82, s82, 0xffffff                               // 000000005F18: 8652FF52 00FFFFFF
	s_cmp_lt_u32 s82, s66                                      // 000000005F20: BF0A4252
	s_cselect_b32 s21, s36, s60                                // 000000005F24: 85153C24
	s_mov_b64 exec, s[20:21]                                   // 000000005F28: BEFE0114
	buffer_store_dword v98, v6, s[8:11], 0 offen               // 000000005F2C: E0701000 80026206
	s_mov_b64 exec, s[36:37]                                   // 000000005F34: BEFE0124
	v_mov_b32_e32 v6, v79                                      // 000000005F38: 7E0C034F
	s_mov_b64 s[60:61], 0                                      // 000000005F3C: BEBC0180
	v_readlane_b32 s82, v3, 30                                 // 000000005F40: D2890052 00013D03
	s_and_b32 s82, s82, 0xffffff                               // 000000005F48: 8652FF52 00FFFFFF
	s_cmp_lt_u32 s82, s66                                      // 000000005F50: BF0A4252
	s_cselect_b32 s20, s36, s60                                // 000000005F54: 85143C24
	v_readlane_b32 s82, v3, 31                                 // 000000005F58: D2890052 00013F03
	s_and_b32 s82, s82, 0xffffff                               // 000000005F60: 8652FF52 00FFFFFF
	s_cmp_lt_u32 s82, s66                                      // 000000005F68: BF0A4252
	s_cselect_b32 s21, s36, s60                                // 000000005F6C: 85153C24
	s_mov_b64 exec, s[20:21]                                   // 000000005F70: BEFE0114
	buffer_store_dword v99, v6, s[8:11], 0 offen               // 000000005F74: E0701000 80026306
	s_mov_b64 exec, s[36:37]                                   // 000000005F7C: BEFE0124
	v_mov_b32_e32 v6, v80                                      // 000000005F80: 7E0C0350
	s_mov_b64 s[60:61], 0                                      // 000000005F84: BEBC0180
	v_readlane_b32 s82, v3, 32                                 // 000000005F88: D2890052 00014103
	s_and_b32 s82, s82, 0xffffff                               // 000000005F90: 8652FF52 00FFFFFF
	s_cmp_lt_u32 s82, s66                                      // 000000005F98: BF0A4252
	s_cselect_b32 s20, s36, s60                                // 000000005F9C: 85143C24
	v_readlane_b32 s82, v3, 33                                 // 000000005FA0: D2890052 00014303
	s_and_b32 s82, s82, 0xffffff                               // 000000005FA8: 8652FF52 00FFFFFF
	s_cmp_lt_u32 s82, s66                                      // 000000005FB0: BF0A4252
	s_cselect_b32 s21, s36, s60                                // 000000005FB4: 85153C24
	s_mov_b64 exec, s[20:21]                                   // 000000005FB8: BEFE0114
	buffer_store_dword v100, v6, s[8:11], 0 offen              // 000000005FBC: E0701000 80026406
	s_mov_b64 exec, s[36:37]                                   // 000000005FC4: BEFE0124
	v_mov_b32_e32 v6, v81                                      // 000000005FC8: 7E0C0351
	s_mov_b64 s[60:61], 0                                      // 000000005FCC: BEBC0180
	v_readlane_b32 s82, v3, 34                                 // 000000005FD0: D2890052 00014503
	s_and_b32 s82, s82, 0xffffff                               // 000000005FD8: 8652FF52 00FFFFFF
	s_cmp_lt_u32 s82, s66                                      // 000000005FE0: BF0A4252
	s_cselect_b32 s20, s36, s60                                // 000000005FE4: 85143C24
	v_readlane_b32 s82, v3, 35                                 // 000000005FE8: D2890052 00014703
	s_and_b32 s82, s82, 0xffffff                               // 000000005FF0: 8652FF52 00FFFFFF
	s_cmp_lt_u32 s82, s66                                      // 000000005FF8: BF0A4252
	s_cselect_b32 s21, s36, s60                                // 000000005FFC: 85153C24
	s_mov_b64 exec, s[20:21]                                   // 000000006000: BEFE0114
	buffer_store_dword v101, v6, s[8:11], 0 offen              // 000000006004: E0701000 80026506
	s_mov_b64 exec, s[36:37]                                   // 00000000600C: BEFE0124
	s_branch label_269B                                        // 000000006010: BF821913

0000000000006014 <label_0D85>:
	ds_write_b64 v20, v[84:85]                                 // 000000006014: D89A0000 00005414
	ds_write_b64 v20, v[88:89] offset:2176                     // 00000000601C: D89A0880 00005814
	ds_write_b64 v20, v[92:93] offset:4352                     // 000000006024: D89A1100 00005C14
	ds_write_b64 v20, v[96:97] offset:6528                     // 00000000602C: D89A1980 00006014
	ds_write_b64 v20, v[100:101] offset:8704                   // 000000006034: D89A2200 00006414
	ds_write_b64 v20, v[104:105] offset:10880                  // 00000000603C: D89A2A80 00006814
	ds_write_b64 v20, v[108:109] offset:13056                  // 000000006044: D89A3300 00006C14
	ds_write_b64 v20, v[112:113] offset:15232                  // 00000000604C: D89A3B80 00007014
	ds_write_b64 v20, v[116:117] offset:17408                  // 000000006054: D89A4400 00007414
	v_lshrrev_b32_e32 v4, 5, v0                                // 00000000605C: 20080085
	v_xor_b32_e32 v5, 1, v4                                    // 000000006060: 2A0A0881
	s_mul_i32 s60, s65, 2                                      // 000000006064: 923C8241
	s_cmp_eq_u32 s88, 0                                        // 000000006068: BF068058
	s_cselect_b32 s61, 1, 4                                    // 00000000606C: 853D8481
	s_mul_i32 s60, s61, s60                                    // 000000006070: 923C3C3D
	v_readlane_b32 s82, v3, 0                                  // 000000006074: D2890052 00010103
	s_lshr_b32 s61, s82, 24                                    // 00000000607C: 8F3D9852
	s_and_b32 s82, s82, 0xffffff                               // 000000006080: 8652FF52 00FFFFFF
	s_mul_i32 s82, s82, s71                                    // 000000006088: 92524752
	s_mul_i32 s61, s60, s61                                    // 00000000608C: 923D3D3C
	s_add_u32 s82, s82, s61                                    // 000000006090: 80523D52
	v_mul_lo_u32 v6, v5, s82                                   // 000000006094: D2850006 0000A505
	v_readlane_b32 s82, v3, 1                                  // 00000000609C: D2890052 00010303
	s_lshr_b32 s61, s82, 24                                    // 0000000060A4: 8F3D9852
	s_and_b32 s82, s82, 0xffffff                               // 0000000060A8: 8652FF52 00FFFFFF
	s_mul_i32 s82, s82, s71                                    // 0000000060B0: 92524752
	s_mul_i32 s61, s60, s61                                    // 0000000060B4: 923D3D3C
	s_add_u32 s82, s82, s61                                    // 0000000060B8: 80523D52
	v_mul_lo_u32 v7, v4, s82                                   // 0000000060BC: D2850007 0000A504
	v_add_u32_e32 v64, v6, v7                                  // 0000000060C4: 68800F06
	v_readlane_b32 s82, v3, 2                                  // 0000000060C8: D2890052 00010503
	s_lshr_b32 s61, s82, 24                                    // 0000000060D0: 8F3D9852
	s_and_b32 s82, s82, 0xffffff                               // 0000000060D4: 8652FF52 00FFFFFF
	s_mul_i32 s82, s82, s71                                    // 0000000060DC: 92524752
	s_mul_i32 s61, s60, s61                                    // 0000000060E0: 923D3D3C
	s_add_u32 s82, s82, s61                                    // 0000000060E4: 80523D52
	v_mul_lo_u32 v6, v5, s82                                   // 0000000060E8: D2850006 0000A505
	v_readlane_b32 s82, v3, 3                                  // 0000000060F0: D2890052 00010703
	s_lshr_b32 s61, s82, 24                                    // 0000000060F8: 8F3D9852
	s_and_b32 s82, s82, 0xffffff                               // 0000000060FC: 8652FF52 00FFFFFF
	s_mul_i32 s82, s82, s71                                    // 000000006104: 92524752
	s_mul_i32 s61, s60, s61                                    // 000000006108: 923D3D3C
	s_add_u32 s82, s82, s61                                    // 00000000610C: 80523D52
	v_mul_lo_u32 v7, v4, s82                                   // 000000006110: D2850007 0000A504
	v_add_u32_e32 v65, v6, v7                                  // 000000006118: 68820F06
	v_readlane_b32 s82, v3, 4                                  // 00000000611C: D2890052 00010903
	s_lshr_b32 s61, s82, 24                                    // 000000006124: 8F3D9852
	s_and_b32 s82, s82, 0xffffff                               // 000000006128: 8652FF52 00FFFFFF
	s_mul_i32 s82, s82, s71                                    // 000000006130: 92524752
	s_mul_i32 s61, s60, s61                                    // 000000006134: 923D3D3C
	s_add_u32 s82, s82, s61                                    // 000000006138: 80523D52
	v_mul_lo_u32 v6, v5, s82                                   // 00000000613C: D2850006 0000A505
	v_readlane_b32 s82, v3, 5                                  // 000000006144: D2890052 00010B03
	s_lshr_b32 s61, s82, 24                                    // 00000000614C: 8F3D9852
	s_and_b32 s82, s82, 0xffffff                               // 000000006150: 8652FF52 00FFFFFF
	s_mul_i32 s82, s82, s71                                    // 000000006158: 92524752
	s_mul_i32 s61, s60, s61                                    // 00000000615C: 923D3D3C
	s_add_u32 s82, s82, s61                                    // 000000006160: 80523D52
	v_mul_lo_u32 v7, v4, s82                                   // 000000006164: D2850007 0000A504
	v_add_u32_e32 v66, v6, v7                                  // 00000000616C: 68840F06
	v_readlane_b32 s82, v3, 6                                  // 000000006170: D2890052 00010D03
	s_lshr_b32 s61, s82, 24                                    // 000000006178: 8F3D9852
	s_and_b32 s82, s82, 0xffffff                               // 00000000617C: 8652FF52 00FFFFFF
	s_mul_i32 s82, s82, s71                                    // 000000006184: 92524752
	s_mul_i32 s61, s60, s61                                    // 000000006188: 923D3D3C
	s_add_u32 s82, s82, s61                                    // 00000000618C: 80523D52
	v_mul_lo_u32 v6, v5, s82                                   // 000000006190: D2850006 0000A505
	v_readlane_b32 s82, v3, 7                                  // 000000006198: D2890052 00010F03
	s_lshr_b32 s61, s82, 24                                    // 0000000061A0: 8F3D9852
	s_and_b32 s82, s82, 0xffffff                               // 0000000061A4: 8652FF52 00FFFFFF
	s_mul_i32 s82, s82, s71                                    // 0000000061AC: 92524752
	s_mul_i32 s61, s60, s61                                    // 0000000061B0: 923D3D3C
	s_add_u32 s82, s82, s61                                    // 0000000061B4: 80523D52
	v_mul_lo_u32 v7, v4, s82                                   // 0000000061B8: D2850007 0000A504
	v_add_u32_e32 v67, v6, v7                                  // 0000000061C0: 68860F06
	v_readlane_b32 s82, v3, 8                                  // 0000000061C4: D2890052 00011103
	s_lshr_b32 s61, s82, 24                                    // 0000000061CC: 8F3D9852
	s_and_b32 s82, s82, 0xffffff                               // 0000000061D0: 8652FF52 00FFFFFF
	s_mul_i32 s82, s82, s71                                    // 0000000061D8: 92524752
	s_mul_i32 s61, s60, s61                                    // 0000000061DC: 923D3D3C
	s_add_u32 s82, s82, s61                                    // 0000000061E0: 80523D52
	v_mul_lo_u32 v6, v5, s82                                   // 0000000061E4: D2850006 0000A505
	v_readlane_b32 s82, v3, 9                                  // 0000000061EC: D2890052 00011303
	s_lshr_b32 s61, s82, 24                                    // 0000000061F4: 8F3D9852
	s_and_b32 s82, s82, 0xffffff                               // 0000000061F8: 8652FF52 00FFFFFF
	s_mul_i32 s82, s82, s71                                    // 000000006200: 92524752
	s_mul_i32 s61, s60, s61                                    // 000000006204: 923D3D3C
	s_add_u32 s82, s82, s61                                    // 000000006208: 80523D52
	v_mul_lo_u32 v7, v4, s82                                   // 00000000620C: D2850007 0000A504
	v_add_u32_e32 v68, v6, v7                                  // 000000006214: 68880F06
	v_readlane_b32 s82, v3, 10                                 // 000000006218: D2890052 00011503
	s_lshr_b32 s61, s82, 24                                    // 000000006220: 8F3D9852
	s_and_b32 s82, s82, 0xffffff                               // 000000006224: 8652FF52 00FFFFFF
	s_mul_i32 s82, s82, s71                                    // 00000000622C: 92524752
	s_mul_i32 s61, s60, s61                                    // 000000006230: 923D3D3C
	s_add_u32 s82, s82, s61                                    // 000000006234: 80523D52
	v_mul_lo_u32 v6, v5, s82                                   // 000000006238: D2850006 0000A505
	v_readlane_b32 s82, v3, 11                                 // 000000006240: D2890052 00011703
	s_lshr_b32 s61, s82, 24                                    // 000000006248: 8F3D9852
	s_and_b32 s82, s82, 0xffffff                               // 00000000624C: 8652FF52 00FFFFFF
	s_mul_i32 s82, s82, s71                                    // 000000006254: 92524752
	s_mul_i32 s61, s60, s61                                    // 000000006258: 923D3D3C
	s_add_u32 s82, s82, s61                                    // 00000000625C: 80523D52
	v_mul_lo_u32 v7, v4, s82                                   // 000000006260: D2850007 0000A504
	v_add_u32_e32 v69, v6, v7                                  // 000000006268: 688A0F06
	v_readlane_b32 s82, v3, 12                                 // 00000000626C: D2890052 00011903
	s_lshr_b32 s61, s82, 24                                    // 000000006274: 8F3D9852
	s_and_b32 s82, s82, 0xffffff                               // 000000006278: 8652FF52 00FFFFFF
	s_mul_i32 s82, s82, s71                                    // 000000006280: 92524752
	s_mul_i32 s61, s60, s61                                    // 000000006284: 923D3D3C
	s_add_u32 s82, s82, s61                                    // 000000006288: 80523D52
	v_mul_lo_u32 v6, v5, s82                                   // 00000000628C: D2850006 0000A505
	v_readlane_b32 s82, v3, 13                                 // 000000006294: D2890052 00011B03
	s_lshr_b32 s61, s82, 24                                    // 00000000629C: 8F3D9852
	s_and_b32 s82, s82, 0xffffff                               // 0000000062A0: 8652FF52 00FFFFFF
	s_mul_i32 s82, s82, s71                                    // 0000000062A8: 92524752
	s_mul_i32 s61, s60, s61                                    // 0000000062AC: 923D3D3C
	s_add_u32 s82, s82, s61                                    // 0000000062B0: 80523D52
	v_mul_lo_u32 v7, v4, s82                                   // 0000000062B4: D2850007 0000A504
	v_add_u32_e32 v70, v6, v7                                  // 0000000062BC: 688C0F06
	v_readlane_b32 s82, v3, 14                                 // 0000000062C0: D2890052 00011D03
	s_lshr_b32 s61, s82, 24                                    // 0000000062C8: 8F3D9852
	s_and_b32 s82, s82, 0xffffff                               // 0000000062CC: 8652FF52 00FFFFFF
	s_mul_i32 s82, s82, s71                                    // 0000000062D4: 92524752
	s_mul_i32 s61, s60, s61                                    // 0000000062D8: 923D3D3C
	s_add_u32 s82, s82, s61                                    // 0000000062DC: 80523D52
	v_mul_lo_u32 v6, v5, s82                                   // 0000000062E0: D2850006 0000A505
	v_readlane_b32 s82, v3, 15                                 // 0000000062E8: D2890052 00011F03
	s_lshr_b32 s61, s82, 24                                    // 0000000062F0: 8F3D9852
	s_and_b32 s82, s82, 0xffffff                               // 0000000062F4: 8652FF52 00FFFFFF
	s_mul_i32 s82, s82, s71                                    // 0000000062FC: 92524752
	s_mul_i32 s61, s60, s61                                    // 000000006300: 923D3D3C
	s_add_u32 s82, s82, s61                                    // 000000006304: 80523D52
	v_mul_lo_u32 v7, v4, s82                                   // 000000006308: D2850007 0000A504
	v_add_u32_e32 v71, v6, v7                                  // 000000006310: 688E0F06
	v_readlane_b32 s82, v3, 16                                 // 000000006314: D2890052 00012103
	s_lshr_b32 s61, s82, 24                                    // 00000000631C: 8F3D9852
	s_and_b32 s82, s82, 0xffffff                               // 000000006320: 8652FF52 00FFFFFF
	s_mul_i32 s82, s82, s71                                    // 000000006328: 92524752
	s_mul_i32 s61, s60, s61                                    // 00000000632C: 923D3D3C
	s_add_u32 s82, s82, s61                                    // 000000006330: 80523D52
	v_mul_lo_u32 v6, v5, s82                                   // 000000006334: D2850006 0000A505
	v_readlane_b32 s82, v3, 17                                 // 00000000633C: D2890052 00012303
	s_lshr_b32 s61, s82, 24                                    // 000000006344: 8F3D9852
	s_and_b32 s82, s82, 0xffffff                               // 000000006348: 8652FF52 00FFFFFF
	s_mul_i32 s82, s82, s71                                    // 000000006350: 92524752
	s_mul_i32 s61, s60, s61                                    // 000000006354: 923D3D3C
	s_add_u32 s82, s82, s61                                    // 000000006358: 80523D52
	v_mul_lo_u32 v7, v4, s82                                   // 00000000635C: D2850007 0000A504
	v_add_u32_e32 v72, v6, v7                                  // 000000006364: 68900F06
	v_readlane_b32 s82, v3, 18                                 // 000000006368: D2890052 00012503
	s_lshr_b32 s61, s82, 24                                    // 000000006370: 8F3D9852
	s_and_b32 s82, s82, 0xffffff                               // 000000006374: 8652FF52 00FFFFFF
	s_mul_i32 s82, s82, s71                                    // 00000000637C: 92524752
	s_mul_i32 s61, s60, s61                                    // 000000006380: 923D3D3C
	s_add_u32 s82, s82, s61                                    // 000000006384: 80523D52
	v_mul_lo_u32 v6, v5, s82                                   // 000000006388: D2850006 0000A505
	v_readlane_b32 s82, v3, 19                                 // 000000006390: D2890052 00012703
	s_lshr_b32 s61, s82, 24                                    // 000000006398: 8F3D9852
	s_and_b32 s82, s82, 0xffffff                               // 00000000639C: 8652FF52 00FFFFFF
	s_mul_i32 s82, s82, s71                                    // 0000000063A4: 92524752
	s_mul_i32 s61, s60, s61                                    // 0000000063A8: 923D3D3C
	s_add_u32 s82, s82, s61                                    // 0000000063AC: 80523D52
	v_mul_lo_u32 v7, v4, s82                                   // 0000000063B0: D2850007 0000A504
	v_add_u32_e32 v73, v6, v7                                  // 0000000063B8: 68920F06
	v_readlane_b32 s82, v3, 20                                 // 0000000063BC: D2890052 00012903
	s_lshr_b32 s61, s82, 24                                    // 0000000063C4: 8F3D9852
	s_and_b32 s82, s82, 0xffffff                               // 0000000063C8: 8652FF52 00FFFFFF
	s_mul_i32 s82, s82, s71                                    // 0000000063D0: 92524752
	s_mul_i32 s61, s60, s61                                    // 0000000063D4: 923D3D3C
	s_add_u32 s82, s82, s61                                    // 0000000063D8: 80523D52
	v_mul_lo_u32 v6, v5, s82                                   // 0000000063DC: D2850006 0000A505
	v_readlane_b32 s82, v3, 21                                 // 0000000063E4: D2890052 00012B03
	s_lshr_b32 s61, s82, 24                                    // 0000000063EC: 8F3D9852
	s_and_b32 s82, s82, 0xffffff                               // 0000000063F0: 8652FF52 00FFFFFF
	s_mul_i32 s82, s82, s71                                    // 0000000063F8: 92524752
	s_mul_i32 s61, s60, s61                                    // 0000000063FC: 923D3D3C
	s_add_u32 s82, s82, s61                                    // 000000006400: 80523D52
	v_mul_lo_u32 v7, v4, s82                                   // 000000006404: D2850007 0000A504
	v_add_u32_e32 v74, v6, v7                                  // 00000000640C: 68940F06
	v_readlane_b32 s82, v3, 22                                 // 000000006410: D2890052 00012D03
	s_lshr_b32 s61, s82, 24                                    // 000000006418: 8F3D9852
	s_and_b32 s82, s82, 0xffffff                               // 00000000641C: 8652FF52 00FFFFFF
	s_mul_i32 s82, s82, s71                                    // 000000006424: 92524752
	s_mul_i32 s61, s60, s61                                    // 000000006428: 923D3D3C
	s_add_u32 s82, s82, s61                                    // 00000000642C: 80523D52
	v_mul_lo_u32 v6, v5, s82                                   // 000000006430: D2850006 0000A505
	v_readlane_b32 s82, v3, 23                                 // 000000006438: D2890052 00012F03
	s_lshr_b32 s61, s82, 24                                    // 000000006440: 8F3D9852
	s_and_b32 s82, s82, 0xffffff                               // 000000006444: 8652FF52 00FFFFFF
	s_mul_i32 s82, s82, s71                                    // 00000000644C: 92524752
	s_mul_i32 s61, s60, s61                                    // 000000006450: 923D3D3C
	s_add_u32 s82, s82, s61                                    // 000000006454: 80523D52
	v_mul_lo_u32 v7, v4, s82                                   // 000000006458: D2850007 0000A504
	v_add_u32_e32 v75, v6, v7                                  // 000000006460: 68960F06
	v_readlane_b32 s82, v3, 24                                 // 000000006464: D2890052 00013103
	s_lshr_b32 s61, s82, 24                                    // 00000000646C: 8F3D9852
	s_and_b32 s82, s82, 0xffffff                               // 000000006470: 8652FF52 00FFFFFF
	s_mul_i32 s82, s82, s71                                    // 000000006478: 92524752
	s_mul_i32 s61, s60, s61                                    // 00000000647C: 923D3D3C
	s_add_u32 s82, s82, s61                                    // 000000006480: 80523D52
	v_mul_lo_u32 v6, v5, s82                                   // 000000006484: D2850006 0000A505
	v_readlane_b32 s82, v3, 25                                 // 00000000648C: D2890052 00013303
	s_lshr_b32 s61, s82, 24                                    // 000000006494: 8F3D9852
	s_and_b32 s82, s82, 0xffffff                               // 000000006498: 8652FF52 00FFFFFF
	s_mul_i32 s82, s82, s71                                    // 0000000064A0: 92524752
	s_mul_i32 s61, s60, s61                                    // 0000000064A4: 923D3D3C
	s_add_u32 s82, s82, s61                                    // 0000000064A8: 80523D52
	v_mul_lo_u32 v7, v4, s82                                   // 0000000064AC: D2850007 0000A504
	v_add_u32_e32 v76, v6, v7                                  // 0000000064B4: 68980F06
	v_readlane_b32 s82, v3, 26                                 // 0000000064B8: D2890052 00013503
	s_lshr_b32 s61, s82, 24                                    // 0000000064C0: 8F3D9852
	s_and_b32 s82, s82, 0xffffff                               // 0000000064C4: 8652FF52 00FFFFFF
	s_mul_i32 s82, s82, s71                                    // 0000000064CC: 92524752
	s_mul_i32 s61, s60, s61                                    // 0000000064D0: 923D3D3C
	s_add_u32 s82, s82, s61                                    // 0000000064D4: 80523D52
	v_mul_lo_u32 v6, v5, s82                                   // 0000000064D8: D2850006 0000A505
	v_readlane_b32 s82, v3, 27                                 // 0000000064E0: D2890052 00013703
	s_lshr_b32 s61, s82, 24                                    // 0000000064E8: 8F3D9852
	s_and_b32 s82, s82, 0xffffff                               // 0000000064EC: 8652FF52 00FFFFFF
	s_mul_i32 s82, s82, s71                                    // 0000000064F4: 92524752
	s_mul_i32 s61, s60, s61                                    // 0000000064F8: 923D3D3C
	s_add_u32 s82, s82, s61                                    // 0000000064FC: 80523D52
	v_mul_lo_u32 v7, v4, s82                                   // 000000006500: D2850007 0000A504
	v_add_u32_e32 v77, v6, v7                                  // 000000006508: 689A0F06
	v_readlane_b32 s82, v3, 28                                 // 00000000650C: D2890052 00013903
	s_lshr_b32 s61, s82, 24                                    // 000000006514: 8F3D9852
	s_and_b32 s82, s82, 0xffffff                               // 000000006518: 8652FF52 00FFFFFF
	s_mul_i32 s82, s82, s71                                    // 000000006520: 92524752
	s_mul_i32 s61, s60, s61                                    // 000000006524: 923D3D3C
	s_add_u32 s82, s82, s61                                    // 000000006528: 80523D52
	v_mul_lo_u32 v6, v5, s82                                   // 00000000652C: D2850006 0000A505
	v_readlane_b32 s82, v3, 29                                 // 000000006534: D2890052 00013B03
	s_lshr_b32 s61, s82, 24                                    // 00000000653C: 8F3D9852
	s_and_b32 s82, s82, 0xffffff                               // 000000006540: 8652FF52 00FFFFFF
	s_mul_i32 s82, s82, s71                                    // 000000006548: 92524752
	s_mul_i32 s61, s60, s61                                    // 00000000654C: 923D3D3C
	s_add_u32 s82, s82, s61                                    // 000000006550: 80523D52
	v_mul_lo_u32 v7, v4, s82                                   // 000000006554: D2850007 0000A504
	v_add_u32_e32 v78, v6, v7                                  // 00000000655C: 689C0F06
	v_readlane_b32 s82, v3, 30                                 // 000000006560: D2890052 00013D03
	s_lshr_b32 s61, s82, 24                                    // 000000006568: 8F3D9852
	s_and_b32 s82, s82, 0xffffff                               // 00000000656C: 8652FF52 00FFFFFF
	s_mul_i32 s82, s82, s71                                    // 000000006574: 92524752
	s_mul_i32 s61, s60, s61                                    // 000000006578: 923D3D3C
	s_add_u32 s82, s82, s61                                    // 00000000657C: 80523D52
	v_mul_lo_u32 v6, v5, s82                                   // 000000006580: D2850006 0000A505
	v_readlane_b32 s82, v3, 31                                 // 000000006588: D2890052 00013F03
	s_lshr_b32 s61, s82, 24                                    // 000000006590: 8F3D9852
	s_and_b32 s82, s82, 0xffffff                               // 000000006594: 8652FF52 00FFFFFF
	s_mul_i32 s82, s82, s71                                    // 00000000659C: 92524752
	s_mul_i32 s61, s60, s61                                    // 0000000065A0: 923D3D3C
	s_add_u32 s82, s82, s61                                    // 0000000065A4: 80523D52
	v_mul_lo_u32 v7, v4, s82                                   // 0000000065A8: D2850007 0000A504
	v_add_u32_e32 v79, v6, v7                                  // 0000000065B0: 689E0F06
	v_readlane_b32 s82, v3, 32                                 // 0000000065B4: D2890052 00014103
	s_lshr_b32 s61, s82, 24                                    // 0000000065BC: 8F3D9852
	s_and_b32 s82, s82, 0xffffff                               // 0000000065C0: 8652FF52 00FFFFFF
	s_mul_i32 s82, s82, s71                                    // 0000000065C8: 92524752
	s_mul_i32 s61, s60, s61                                    // 0000000065CC: 923D3D3C
	s_add_u32 s82, s82, s61                                    // 0000000065D0: 80523D52
	v_mul_lo_u32 v6, v5, s82                                   // 0000000065D4: D2850006 0000A505
	v_readlane_b32 s82, v3, 33                                 // 0000000065DC: D2890052 00014303
	s_lshr_b32 s61, s82, 24                                    // 0000000065E4: 8F3D9852
	s_and_b32 s82, s82, 0xffffff                               // 0000000065E8: 8652FF52 00FFFFFF
	s_mul_i32 s82, s82, s71                                    // 0000000065F0: 92524752
	s_mul_i32 s61, s60, s61                                    // 0000000065F4: 923D3D3C
	s_add_u32 s82, s82, s61                                    // 0000000065F8: 80523D52
	v_mul_lo_u32 v7, v4, s82                                   // 0000000065FC: D2850007 0000A504
	v_add_u32_e32 v80, v6, v7                                  // 000000006604: 68A00F06
	v_readlane_b32 s82, v3, 34                                 // 000000006608: D2890052 00014503
	s_lshr_b32 s61, s82, 24                                    // 000000006610: 8F3D9852
	s_and_b32 s82, s82, 0xffffff                               // 000000006614: 8652FF52 00FFFFFF
	s_mul_i32 s82, s82, s71                                    // 00000000661C: 92524752
	s_mul_i32 s61, s60, s61                                    // 000000006620: 923D3D3C
	s_add_u32 s82, s82, s61                                    // 000000006624: 80523D52
	v_mul_lo_u32 v6, v5, s82                                   // 000000006628: D2850006 0000A505
	v_readlane_b32 s82, v3, 35                                 // 000000006630: D2890052 00014703
	s_lshr_b32 s61, s82, 24                                    // 000000006638: 8F3D9852
	s_and_b32 s82, s82, 0xffffff                               // 00000000663C: 8652FF52 00FFFFFF
	s_mul_i32 s82, s82, s71                                    // 000000006644: 92524752
	s_mul_i32 s61, s60, s61                                    // 000000006648: 923D3D3C
	s_add_u32 s82, s82, s61                                    // 00000000664C: 80523D52
	v_mul_lo_u32 v7, v4, s82                                   // 000000006650: D2850007 0000A504
	v_add_u32_e32 v81, v6, v7                                  // 000000006658: 68A20F06
	v_and_b32_e32 v4, 31, v0                                   // 00000000665C: 2608009F
	v_lshrrev_b32_e32 v4, 1, v4                                // 000000006660: 20080881
	s_cmp_eq_u32 s88, 0                                        // 000000006664: BF068058
	s_cselect_b32 s61, 2, 4                                    // 000000006668: 853D8482
	v_mul_lo_u32 v4, v4, s61                                   // 00000000666C: D2850004 00007B04
	v_and_b32_e64 v5, v0, 1                                    // 000000006674: D1130005 00010300
	v_add_u32_e32 v4, v4, v5                                   // 00000000667C: 68080B04
	v_lshlrev_b32_e32 v4, 2, v4                                // 000000006680: 24080882
	v_add_u32_e32 v64, v64, v4                                 // 000000006684: 68800940
	v_add_u32_e32 v65, v65, v4                                 // 000000006688: 68820941
	v_add_u32_e32 v66, v66, v4                                 // 00000000668C: 68840942
	v_add_u32_e32 v67, v67, v4                                 // 000000006690: 68860943
	v_add_u32_e32 v68, v68, v4                                 // 000000006694: 68880944
	v_add_u32_e32 v69, v69, v4                                 // 000000006698: 688A0945
	v_add_u32_e32 v70, v70, v4                                 // 00000000669C: 688C0946
	v_add_u32_e32 v71, v71, v4                                 // 0000000066A0: 688E0947
	v_add_u32_e32 v72, v72, v4                                 // 0000000066A4: 68900948
	v_add_u32_e32 v73, v73, v4                                 // 0000000066A8: 68920949
	v_add_u32_e32 v74, v74, v4                                 // 0000000066AC: 6894094A
	v_add_u32_e32 v75, v75, v4                                 // 0000000066B0: 6896094B
	v_add_u32_e32 v76, v76, v4                                 // 0000000066B4: 6898094C
	v_add_u32_e32 v77, v77, v4                                 // 0000000066B8: 689A094D
	v_add_u32_e32 v78, v78, v4                                 // 0000000066BC: 689C094E
	v_add_u32_e32 v79, v79, v4                                 // 0000000066C0: 689E094F
	v_add_u32_e32 v80, v80, v4                                 // 0000000066C4: 68A00950
	v_add_u32_e32 v81, v81, v4                                 // 0000000066C8: 68A20951
	s_waitcnt lgkmcnt(0)                                       // 0000000066CC: BF8CC07F
	s_barrier                                                  // 0000000066D0: BF8A0000
	ds_read_b32 v84, v21                                       // 0000000066D4: D86C0000 54000015
	ds_read_b32 v85, v21 offset:64                             // 0000000066DC: D86C0040 55000015
	ds_read_b32 v88, v21 offset:2176                           // 0000000066E4: D86C0880 58000015
	ds_read_b32 v89, v21 offset:2240                           // 0000000066EC: D86C08C0 59000015
	ds_read_b32 v92, v21 offset:4352                           // 0000000066F4: D86C1100 5C000015
	ds_read_b32 v93, v21 offset:4416                           // 0000000066FC: D86C1140 5D000015
	ds_read_b32 v96, v21 offset:6528                           // 000000006704: D86C1980 60000015
	ds_read_b32 v97, v21 offset:6592                           // 00000000670C: D86C19C0 61000015
	ds_read_b32 v100, v21 offset:8704                          // 000000006714: D86C2200 64000015
	ds_read_b32 v101, v21 offset:8768                          // 00000000671C: D86C2240 65000015
	ds_read_b32 v104, v21 offset:10880                         // 000000006724: D86C2A80 68000015
	ds_read_b32 v105, v21 offset:10944                         // 00000000672C: D86C2AC0 69000015
	ds_read_b32 v108, v21 offset:13056                         // 000000006734: D86C3300 6C000015
	ds_read_b32 v109, v21 offset:13120                         // 00000000673C: D86C3340 6D000015
	ds_read_b32 v112, v21 offset:15232                         // 000000006744: D86C3B80 70000015
	ds_read_b32 v113, v21 offset:15296                         // 00000000674C: D86C3BC0 71000015
	ds_read_b32 v116, v21 offset:17408                         // 000000006754: D86C4400 74000015
	ds_read_b32 v117, v21 offset:17472                         // 00000000675C: D86C4440 75000015
	s_waitcnt lgkmcnt(0)                                       // 000000006764: BF8CC07F
	s_mov_b32 s36, -1                                          // 000000006768: BEA400C1
	s_mov_b32 s37, -1                                          // 00000000676C: BEA500C1
	v_mov_b32_e32 v7, 0                                        // 000000006770: 7E0E0280
	s_mov_b64 exec, s[36:37]                                   // 000000006774: BEFE0124
	v_mov_b32_e32 v6, v64                                      // 000000006778: 7E0C0340
	s_mov_b64 s[60:61], 0                                      // 00000000677C: BEBC0180
	v_readlane_b32 s82, v3, 0                                  // 000000006780: D2890052 00010103
	s_and_b32 s82, s82, 0xffffff                               // 000000006788: 8652FF52 00FFFFFF
	s_cmp_lt_u32 s82, s66                                      // 000000006790: BF0A4252
	s_cselect_b32 s20, s36, s60                                // 000000006794: 85143C24
	v_readlane_b32 s82, v3, 1                                  // 000000006798: D2890052 00010303
	s_and_b32 s82, s82, 0xffffff                               // 0000000067A0: 8652FF52 00FFFFFF
	s_cmp_lt_u32 s82, s66                                      // 0000000067A8: BF0A4252
	s_cselect_b32 s21, s36, s60                                // 0000000067AC: 85153C24
	s_mov_b64 exec, s[20:21]                                   // 0000000067B0: BEFE0114
	global_atomic_add_f32 v6, v84, s[8:9]                      // 0000000067B4: DD348000 00085406
	s_mov_b64 exec, s[36:37]                                   // 0000000067BC: BEFE0124
	v_mov_b32_e32 v6, v65                                      // 0000000067C0: 7E0C0341
	s_mov_b64 s[60:61], 0                                      // 0000000067C4: BEBC0180
	v_readlane_b32 s82, v3, 2                                  // 0000000067C8: D2890052 00010503
	s_and_b32 s82, s82, 0xffffff                               // 0000000067D0: 8652FF52 00FFFFFF
	s_cmp_lt_u32 s82, s66                                      // 0000000067D8: BF0A4252
	s_cselect_b32 s20, s36, s60                                // 0000000067DC: 85143C24
	v_readlane_b32 s82, v3, 3                                  // 0000000067E0: D2890052 00010703
	s_and_b32 s82, s82, 0xffffff                               // 0000000067E8: 8652FF52 00FFFFFF
	s_cmp_lt_u32 s82, s66                                      // 0000000067F0: BF0A4252
	s_cselect_b32 s21, s36, s60                                // 0000000067F4: 85153C24
	s_mov_b64 exec, s[20:21]                                   // 0000000067F8: BEFE0114
	global_atomic_add_f32 v6, v85, s[8:9]                      // 0000000067FC: DD348000 00085506
	s_mov_b64 exec, s[36:37]                                   // 000000006804: BEFE0124
	v_mov_b32_e32 v6, v66                                      // 000000006808: 7E0C0342
	s_mov_b64 s[60:61], 0                                      // 00000000680C: BEBC0180
	v_readlane_b32 s82, v3, 4                                  // 000000006810: D2890052 00010903
	s_and_b32 s82, s82, 0xffffff                               // 000000006818: 8652FF52 00FFFFFF
	s_cmp_lt_u32 s82, s66                                      // 000000006820: BF0A4252
	s_cselect_b32 s20, s36, s60                                // 000000006824: 85143C24
	v_readlane_b32 s82, v3, 5                                  // 000000006828: D2890052 00010B03
	s_and_b32 s82, s82, 0xffffff                               // 000000006830: 8652FF52 00FFFFFF
	s_cmp_lt_u32 s82, s66                                      // 000000006838: BF0A4252
	s_cselect_b32 s21, s36, s60                                // 00000000683C: 85153C24
	s_mov_b64 exec, s[20:21]                                   // 000000006840: BEFE0114
	global_atomic_add_f32 v6, v88, s[8:9]                      // 000000006844: DD348000 00085806
	s_mov_b64 exec, s[36:37]                                   // 00000000684C: BEFE0124
	v_mov_b32_e32 v6, v67                                      // 000000006850: 7E0C0343
	s_mov_b64 s[60:61], 0                                      // 000000006854: BEBC0180
	v_readlane_b32 s82, v3, 6                                  // 000000006858: D2890052 00010D03
	s_and_b32 s82, s82, 0xffffff                               // 000000006860: 8652FF52 00FFFFFF
	s_cmp_lt_u32 s82, s66                                      // 000000006868: BF0A4252
	s_cselect_b32 s20, s36, s60                                // 00000000686C: 85143C24
	v_readlane_b32 s82, v3, 7                                  // 000000006870: D2890052 00010F03
	s_and_b32 s82, s82, 0xffffff                               // 000000006878: 8652FF52 00FFFFFF
	s_cmp_lt_u32 s82, s66                                      // 000000006880: BF0A4252
	s_cselect_b32 s21, s36, s60                                // 000000006884: 85153C24
	s_mov_b64 exec, s[20:21]                                   // 000000006888: BEFE0114
	global_atomic_add_f32 v6, v89, s[8:9]                      // 00000000688C: DD348000 00085906
	s_mov_b64 exec, s[36:37]                                   // 000000006894: BEFE0124
	v_mov_b32_e32 v6, v68                                      // 000000006898: 7E0C0344
	s_mov_b64 s[60:61], 0                                      // 00000000689C: BEBC0180
	v_readlane_b32 s82, v3, 8                                  // 0000000068A0: D2890052 00011103
	s_and_b32 s82, s82, 0xffffff                               // 0000000068A8: 8652FF52 00FFFFFF
	s_cmp_lt_u32 s82, s66                                      // 0000000068B0: BF0A4252
	s_cselect_b32 s20, s36, s60                                // 0000000068B4: 85143C24
	v_readlane_b32 s82, v3, 9                                  // 0000000068B8: D2890052 00011303
	s_and_b32 s82, s82, 0xffffff                               // 0000000068C0: 8652FF52 00FFFFFF
	s_cmp_lt_u32 s82, s66                                      // 0000000068C8: BF0A4252
	s_cselect_b32 s21, s36, s60                                // 0000000068CC: 85153C24
	s_mov_b64 exec, s[20:21]                                   // 0000000068D0: BEFE0114
	global_atomic_add_f32 v6, v92, s[8:9]                      // 0000000068D4: DD348000 00085C06
	s_mov_b64 exec, s[36:37]                                   // 0000000068DC: BEFE0124
	v_mov_b32_e32 v6, v69                                      // 0000000068E0: 7E0C0345
	s_mov_b64 s[60:61], 0                                      // 0000000068E4: BEBC0180
	v_readlane_b32 s82, v3, 10                                 // 0000000068E8: D2890052 00011503
	s_and_b32 s82, s82, 0xffffff                               // 0000000068F0: 8652FF52 00FFFFFF
	s_cmp_lt_u32 s82, s66                                      // 0000000068F8: BF0A4252
	s_cselect_b32 s20, s36, s60                                // 0000000068FC: 85143C24
	v_readlane_b32 s82, v3, 11                                 // 000000006900: D2890052 00011703
	s_and_b32 s82, s82, 0xffffff                               // 000000006908: 8652FF52 00FFFFFF
	s_cmp_lt_u32 s82, s66                                      // 000000006910: BF0A4252
	s_cselect_b32 s21, s36, s60                                // 000000006914: 85153C24
	s_mov_b64 exec, s[20:21]                                   // 000000006918: BEFE0114
	global_atomic_add_f32 v6, v93, s[8:9]                      // 00000000691C: DD348000 00085D06
	s_mov_b64 exec, s[36:37]                                   // 000000006924: BEFE0124
	v_mov_b32_e32 v6, v70                                      // 000000006928: 7E0C0346
	s_mov_b64 s[60:61], 0                                      // 00000000692C: BEBC0180
	v_readlane_b32 s82, v3, 12                                 // 000000006930: D2890052 00011903
	s_and_b32 s82, s82, 0xffffff                               // 000000006938: 8652FF52 00FFFFFF
	s_cmp_lt_u32 s82, s66                                      // 000000006940: BF0A4252
	s_cselect_b32 s20, s36, s60                                // 000000006944: 85143C24
	v_readlane_b32 s82, v3, 13                                 // 000000006948: D2890052 00011B03
	s_and_b32 s82, s82, 0xffffff                               // 000000006950: 8652FF52 00FFFFFF
	s_cmp_lt_u32 s82, s66                                      // 000000006958: BF0A4252
	s_cselect_b32 s21, s36, s60                                // 00000000695C: 85153C24
	s_mov_b64 exec, s[20:21]                                   // 000000006960: BEFE0114
	global_atomic_add_f32 v6, v96, s[8:9]                      // 000000006964: DD348000 00086006
	s_mov_b64 exec, s[36:37]                                   // 00000000696C: BEFE0124
	v_mov_b32_e32 v6, v71                                      // 000000006970: 7E0C0347
	s_mov_b64 s[60:61], 0                                      // 000000006974: BEBC0180
	v_readlane_b32 s82, v3, 14                                 // 000000006978: D2890052 00011D03
	s_and_b32 s82, s82, 0xffffff                               // 000000006980: 8652FF52 00FFFFFF
	s_cmp_lt_u32 s82, s66                                      // 000000006988: BF0A4252
	s_cselect_b32 s20, s36, s60                                // 00000000698C: 85143C24
	v_readlane_b32 s82, v3, 15                                 // 000000006990: D2890052 00011F03
	s_and_b32 s82, s82, 0xffffff                               // 000000006998: 8652FF52 00FFFFFF
	s_cmp_lt_u32 s82, s66                                      // 0000000069A0: BF0A4252
	s_cselect_b32 s21, s36, s60                                // 0000000069A4: 85153C24
	s_mov_b64 exec, s[20:21]                                   // 0000000069A8: BEFE0114
	global_atomic_add_f32 v6, v97, s[8:9]                      // 0000000069AC: DD348000 00086106
	s_mov_b64 exec, s[36:37]                                   // 0000000069B4: BEFE0124
	v_mov_b32_e32 v6, v72                                      // 0000000069B8: 7E0C0348
	s_mov_b64 s[60:61], 0                                      // 0000000069BC: BEBC0180
	v_readlane_b32 s82, v3, 16                                 // 0000000069C0: D2890052 00012103
	s_and_b32 s82, s82, 0xffffff                               // 0000000069C8: 8652FF52 00FFFFFF
	s_cmp_lt_u32 s82, s66                                      // 0000000069D0: BF0A4252
	s_cselect_b32 s20, s36, s60                                // 0000000069D4: 85143C24
	v_readlane_b32 s82, v3, 17                                 // 0000000069D8: D2890052 00012303
	s_and_b32 s82, s82, 0xffffff                               // 0000000069E0: 8652FF52 00FFFFFF
	s_cmp_lt_u32 s82, s66                                      // 0000000069E8: BF0A4252
	s_cselect_b32 s21, s36, s60                                // 0000000069EC: 85153C24
	s_mov_b64 exec, s[20:21]                                   // 0000000069F0: BEFE0114
	global_atomic_add_f32 v6, v100, s[8:9]                     // 0000000069F4: DD348000 00086406
	s_mov_b64 exec, s[36:37]                                   // 0000000069FC: BEFE0124
	v_mov_b32_e32 v6, v73                                      // 000000006A00: 7E0C0349
	s_mov_b64 s[60:61], 0                                      // 000000006A04: BEBC0180
	v_readlane_b32 s82, v3, 18                                 // 000000006A08: D2890052 00012503
	s_and_b32 s82, s82, 0xffffff                               // 000000006A10: 8652FF52 00FFFFFF
	s_cmp_lt_u32 s82, s66                                      // 000000006A18: BF0A4252
	s_cselect_b32 s20, s36, s60                                // 000000006A1C: 85143C24
	v_readlane_b32 s82, v3, 19                                 // 000000006A20: D2890052 00012703
	s_and_b32 s82, s82, 0xffffff                               // 000000006A28: 8652FF52 00FFFFFF
	s_cmp_lt_u32 s82, s66                                      // 000000006A30: BF0A4252
	s_cselect_b32 s21, s36, s60                                // 000000006A34: 85153C24
	s_mov_b64 exec, s[20:21]                                   // 000000006A38: BEFE0114
	global_atomic_add_f32 v6, v101, s[8:9]                     // 000000006A3C: DD348000 00086506
	s_mov_b64 exec, s[36:37]                                   // 000000006A44: BEFE0124
	v_mov_b32_e32 v6, v74                                      // 000000006A48: 7E0C034A
	s_mov_b64 s[60:61], 0                                      // 000000006A4C: BEBC0180
	v_readlane_b32 s82, v3, 20                                 // 000000006A50: D2890052 00012903
	s_and_b32 s82, s82, 0xffffff                               // 000000006A58: 8652FF52 00FFFFFF
	s_cmp_lt_u32 s82, s66                                      // 000000006A60: BF0A4252
	s_cselect_b32 s20, s36, s60                                // 000000006A64: 85143C24
	v_readlane_b32 s82, v3, 21                                 // 000000006A68: D2890052 00012B03
	s_and_b32 s82, s82, 0xffffff                               // 000000006A70: 8652FF52 00FFFFFF
	s_cmp_lt_u32 s82, s66                                      // 000000006A78: BF0A4252
	s_cselect_b32 s21, s36, s60                                // 000000006A7C: 85153C24
	s_mov_b64 exec, s[20:21]                                   // 000000006A80: BEFE0114
	global_atomic_add_f32 v6, v104, s[8:9]                     // 000000006A84: DD348000 00086806
	s_mov_b64 exec, s[36:37]                                   // 000000006A8C: BEFE0124
	v_mov_b32_e32 v6, v75                                      // 000000006A90: 7E0C034B
	s_mov_b64 s[60:61], 0                                      // 000000006A94: BEBC0180
	v_readlane_b32 s82, v3, 22                                 // 000000006A98: D2890052 00012D03
	s_and_b32 s82, s82, 0xffffff                               // 000000006AA0: 8652FF52 00FFFFFF
	s_cmp_lt_u32 s82, s66                                      // 000000006AA8: BF0A4252
	s_cselect_b32 s20, s36, s60                                // 000000006AAC: 85143C24
	v_readlane_b32 s82, v3, 23                                 // 000000006AB0: D2890052 00012F03
	s_and_b32 s82, s82, 0xffffff                               // 000000006AB8: 8652FF52 00FFFFFF
	s_cmp_lt_u32 s82, s66                                      // 000000006AC0: BF0A4252
	s_cselect_b32 s21, s36, s60                                // 000000006AC4: 85153C24
	s_mov_b64 exec, s[20:21]                                   // 000000006AC8: BEFE0114
	global_atomic_add_f32 v6, v105, s[8:9]                     // 000000006ACC: DD348000 00086906
	s_mov_b64 exec, s[36:37]                                   // 000000006AD4: BEFE0124
	v_mov_b32_e32 v6, v76                                      // 000000006AD8: 7E0C034C
	s_mov_b64 s[60:61], 0                                      // 000000006ADC: BEBC0180
	v_readlane_b32 s82, v3, 24                                 // 000000006AE0: D2890052 00013103
	s_and_b32 s82, s82, 0xffffff                               // 000000006AE8: 8652FF52 00FFFFFF
	s_cmp_lt_u32 s82, s66                                      // 000000006AF0: BF0A4252
	s_cselect_b32 s20, s36, s60                                // 000000006AF4: 85143C24
	v_readlane_b32 s82, v3, 25                                 // 000000006AF8: D2890052 00013303
	s_and_b32 s82, s82, 0xffffff                               // 000000006B00: 8652FF52 00FFFFFF
	s_cmp_lt_u32 s82, s66                                      // 000000006B08: BF0A4252
	s_cselect_b32 s21, s36, s60                                // 000000006B0C: 85153C24
	s_mov_b64 exec, s[20:21]                                   // 000000006B10: BEFE0114
	global_atomic_add_f32 v6, v108, s[8:9]                     // 000000006B14: DD348000 00086C06
	s_mov_b64 exec, s[36:37]                                   // 000000006B1C: BEFE0124
	v_mov_b32_e32 v6, v77                                      // 000000006B20: 7E0C034D
	s_mov_b64 s[60:61], 0                                      // 000000006B24: BEBC0180
	v_readlane_b32 s82, v3, 26                                 // 000000006B28: D2890052 00013503
	s_and_b32 s82, s82, 0xffffff                               // 000000006B30: 8652FF52 00FFFFFF
	s_cmp_lt_u32 s82, s66                                      // 000000006B38: BF0A4252
	s_cselect_b32 s20, s36, s60                                // 000000006B3C: 85143C24
	v_readlane_b32 s82, v3, 27                                 // 000000006B40: D2890052 00013703
	s_and_b32 s82, s82, 0xffffff                               // 000000006B48: 8652FF52 00FFFFFF
	s_cmp_lt_u32 s82, s66                                      // 000000006B50: BF0A4252
	s_cselect_b32 s21, s36, s60                                // 000000006B54: 85153C24
	s_mov_b64 exec, s[20:21]                                   // 000000006B58: BEFE0114
	global_atomic_add_f32 v6, v109, s[8:9]                     // 000000006B5C: DD348000 00086D06
	s_mov_b64 exec, s[36:37]                                   // 000000006B64: BEFE0124
	v_mov_b32_e32 v6, v78                                      // 000000006B68: 7E0C034E
	s_mov_b64 s[60:61], 0                                      // 000000006B6C: BEBC0180
	v_readlane_b32 s82, v3, 28                                 // 000000006B70: D2890052 00013903
	s_and_b32 s82, s82, 0xffffff                               // 000000006B78: 8652FF52 00FFFFFF
	s_cmp_lt_u32 s82, s66                                      // 000000006B80: BF0A4252
	s_cselect_b32 s20, s36, s60                                // 000000006B84: 85143C24
	v_readlane_b32 s82, v3, 29                                 // 000000006B88: D2890052 00013B03
	s_and_b32 s82, s82, 0xffffff                               // 000000006B90: 8652FF52 00FFFFFF
	s_cmp_lt_u32 s82, s66                                      // 000000006B98: BF0A4252
	s_cselect_b32 s21, s36, s60                                // 000000006B9C: 85153C24
	s_mov_b64 exec, s[20:21]                                   // 000000006BA0: BEFE0114
	global_atomic_add_f32 v6, v112, s[8:9]                     // 000000006BA4: DD348000 00087006
	s_mov_b64 exec, s[36:37]                                   // 000000006BAC: BEFE0124
	v_mov_b32_e32 v6, v79                                      // 000000006BB0: 7E0C034F
	s_mov_b64 s[60:61], 0                                      // 000000006BB4: BEBC0180
	v_readlane_b32 s82, v3, 30                                 // 000000006BB8: D2890052 00013D03
	s_and_b32 s82, s82, 0xffffff                               // 000000006BC0: 8652FF52 00FFFFFF
	s_cmp_lt_u32 s82, s66                                      // 000000006BC8: BF0A4252
	s_cselect_b32 s20, s36, s60                                // 000000006BCC: 85143C24
	v_readlane_b32 s82, v3, 31                                 // 000000006BD0: D2890052 00013F03
	s_and_b32 s82, s82, 0xffffff                               // 000000006BD8: 8652FF52 00FFFFFF
	s_cmp_lt_u32 s82, s66                                      // 000000006BE0: BF0A4252
	s_cselect_b32 s21, s36, s60                                // 000000006BE4: 85153C24
	s_mov_b64 exec, s[20:21]                                   // 000000006BE8: BEFE0114
	global_atomic_add_f32 v6, v113, s[8:9]                     // 000000006BEC: DD348000 00087106
	s_mov_b64 exec, s[36:37]                                   // 000000006BF4: BEFE0124
	v_mov_b32_e32 v6, v80                                      // 000000006BF8: 7E0C0350
	s_mov_b64 s[60:61], 0                                      // 000000006BFC: BEBC0180
	v_readlane_b32 s82, v3, 32                                 // 000000006C00: D2890052 00014103
	s_and_b32 s82, s82, 0xffffff                               // 000000006C08: 8652FF52 00FFFFFF
	s_cmp_lt_u32 s82, s66                                      // 000000006C10: BF0A4252
	s_cselect_b32 s20, s36, s60                                // 000000006C14: 85143C24
	v_readlane_b32 s82, v3, 33                                 // 000000006C18: D2890052 00014303
	s_and_b32 s82, s82, 0xffffff                               // 000000006C20: 8652FF52 00FFFFFF
	s_cmp_lt_u32 s82, s66                                      // 000000006C28: BF0A4252
	s_cselect_b32 s21, s36, s60                                // 000000006C2C: 85153C24
	s_mov_b64 exec, s[20:21]                                   // 000000006C30: BEFE0114
	global_atomic_add_f32 v6, v116, s[8:9]                     // 000000006C34: DD348000 00087406
	s_mov_b64 exec, s[36:37]                                   // 000000006C3C: BEFE0124
	v_mov_b32_e32 v6, v81                                      // 000000006C40: 7E0C0351
	s_mov_b64 s[60:61], 0                                      // 000000006C44: BEBC0180
	v_readlane_b32 s82, v3, 34                                 // 000000006C48: D2890052 00014503
	s_and_b32 s82, s82, 0xffffff                               // 000000006C50: 8652FF52 00FFFFFF
	s_cmp_lt_u32 s82, s66                                      // 000000006C58: BF0A4252
	s_cselect_b32 s20, s36, s60                                // 000000006C5C: 85143C24
	v_readlane_b32 s82, v3, 35                                 // 000000006C60: D2890052 00014703
	s_and_b32 s82, s82, 0xffffff                               // 000000006C68: 8652FF52 00FFFFFF
	s_cmp_lt_u32 s82, s66                                      // 000000006C70: BF0A4252
	s_cselect_b32 s21, s36, s60                                // 000000006C74: 85153C24
	s_mov_b64 exec, s[20:21]                                   // 000000006C78: BEFE0114
	global_atomic_add_f32 v6, v117, s[8:9]                     // 000000006C7C: DD348000 00087506
	s_mov_b64 exec, s[36:37]                                   // 000000006C84: BEFE0124
	ds_write_b64 v20, v[86:87]                                 // 000000006C88: D89A0000 00005614
	ds_write_b64 v20, v[90:91] offset:2176                     // 000000006C90: D89A0880 00005A14
	ds_write_b64 v20, v[94:95] offset:4352                     // 000000006C98: D89A1100 00005E14
	ds_write_b64 v20, v[98:99] offset:6528                     // 000000006CA0: D89A1980 00006214
	ds_write_b64 v20, v[102:103] offset:8704                   // 000000006CA8: D89A2200 00006614
	ds_write_b64 v20, v[106:107] offset:10880                  // 000000006CB0: D89A2A80 00006A14
	ds_write_b64 v20, v[110:111] offset:13056                  // 000000006CB8: D89A3300 00006E14
	ds_write_b64 v20, v[114:115] offset:15232                  // 000000006CC0: D89A3B80 00007214
	ds_write_b64 v20, v[118:119] offset:17408                  // 000000006CC8: D89A4400 00007614
	s_waitcnt lgkmcnt(0)                                       // 000000006CD0: BF8CC07F
	s_barrier                                                  // 000000006CD4: BF8A0000
	ds_read_b32 v86, v21                                       // 000000006CD8: D86C0000 56000015
	ds_read_b32 v87, v21 offset:64                             // 000000006CE0: D86C0040 57000015
	ds_read_b32 v90, v21 offset:2176                           // 000000006CE8: D86C0880 5A000015
	ds_read_b32 v91, v21 offset:2240                           // 000000006CF0: D86C08C0 5B000015
	ds_read_b32 v94, v21 offset:4352                           // 000000006CF8: D86C1100 5E000015
	ds_read_b32 v95, v21 offset:4416                           // 000000006D00: D86C1140 5F000015
	ds_read_b32 v98, v21 offset:6528                           // 000000006D08: D86C1980 62000015
	ds_read_b32 v99, v21 offset:6592                           // 000000006D10: D86C19C0 63000015
	ds_read_b32 v102, v21 offset:8704                          // 000000006D18: D86C2200 66000015
	ds_read_b32 v103, v21 offset:8768                          // 000000006D20: D86C2240 67000015
	ds_read_b32 v106, v21 offset:10880                         // 000000006D28: D86C2A80 6A000015
	ds_read_b32 v107, v21 offset:10944                         // 000000006D30: D86C2AC0 6B000015
	ds_read_b32 v110, v21 offset:13056                         // 000000006D38: D86C3300 6E000015
	ds_read_b32 v111, v21 offset:13120                         // 000000006D40: D86C3340 6F000015
	ds_read_b32 v114, v21 offset:15232                         // 000000006D48: D86C3B80 72000015
	ds_read_b32 v115, v21 offset:15296                         // 000000006D50: D86C3BC0 73000015
	ds_read_b32 v118, v21 offset:17408                         // 000000006D58: D86C4400 76000015
	ds_read_b32 v119, v21 offset:17472                         // 000000006D60: D86C4440 77000015
	s_waitcnt lgkmcnt(0)                                       // 000000006D68: BF8CC07F
	v_mov_b32_e32 v7, 0                                        // 000000006D6C: 7E0E0280
	s_mov_b64 exec, s[36:37]                                   // 000000006D70: BEFE0124
	v_mov_b32_e32 v6, v64                                      // 000000006D74: 7E0C0340
	s_mov_b64 s[60:61], 0                                      // 000000006D78: BEBC0180
	v_readlane_b32 s82, v3, 0                                  // 000000006D7C: D2890052 00010103
	s_and_b32 s82, s82, 0xffffff                               // 000000006D84: 8652FF52 00FFFFFF
	s_cmp_lt_u32 s82, s66                                      // 000000006D8C: BF0A4252
	s_cselect_b32 s20, s36, s60                                // 000000006D90: 85143C24
	v_readlane_b32 s82, v3, 1                                  // 000000006D94: D2890052 00010303
	s_and_b32 s82, s82, 0xffffff                               // 000000006D9C: 8652FF52 00FFFFFF
	s_cmp_lt_u32 s82, s66                                      // 000000006DA4: BF0A4252
	s_cselect_b32 s21, s36, s60                                // 000000006DA8: 85153C24
	s_mov_b64 exec, s[20:21]                                   // 000000006DAC: BEFE0114
	global_atomic_add_f32 v6, v86, s[8:9] offset:8             // 000000006DB0: DD348008 00085606
	s_mov_b64 exec, s[36:37]                                   // 000000006DB8: BEFE0124
	v_mov_b32_e32 v6, v65                                      // 000000006DBC: 7E0C0341
	s_mov_b64 s[60:61], 0                                      // 000000006DC0: BEBC0180
	v_readlane_b32 s82, v3, 2                                  // 000000006DC4: D2890052 00010503
	s_and_b32 s82, s82, 0xffffff                               // 000000006DCC: 8652FF52 00FFFFFF
	s_cmp_lt_u32 s82, s66                                      // 000000006DD4: BF0A4252
	s_cselect_b32 s20, s36, s60                                // 000000006DD8: 85143C24
	v_readlane_b32 s82, v3, 3                                  // 000000006DDC: D2890052 00010703
	s_and_b32 s82, s82, 0xffffff                               // 000000006DE4: 8652FF52 00FFFFFF
	s_cmp_lt_u32 s82, s66                                      // 000000006DEC: BF0A4252
	s_cselect_b32 s21, s36, s60                                // 000000006DF0: 85153C24
	s_mov_b64 exec, s[20:21]                                   // 000000006DF4: BEFE0114
	global_atomic_add_f32 v6, v87, s[8:9] offset:8             // 000000006DF8: DD348008 00085706
	s_mov_b64 exec, s[36:37]                                   // 000000006E00: BEFE0124
	v_mov_b32_e32 v6, v66                                      // 000000006E04: 7E0C0342
	s_mov_b64 s[60:61], 0                                      // 000000006E08: BEBC0180
	v_readlane_b32 s82, v3, 4                                  // 000000006E0C: D2890052 00010903
	s_and_b32 s82, s82, 0xffffff                               // 000000006E14: 8652FF52 00FFFFFF
	s_cmp_lt_u32 s82, s66                                      // 000000006E1C: BF0A4252
	s_cselect_b32 s20, s36, s60                                // 000000006E20: 85143C24
	v_readlane_b32 s82, v3, 5                                  // 000000006E24: D2890052 00010B03
	s_and_b32 s82, s82, 0xffffff                               // 000000006E2C: 8652FF52 00FFFFFF
	s_cmp_lt_u32 s82, s66                                      // 000000006E34: BF0A4252
	s_cselect_b32 s21, s36, s60                                // 000000006E38: 85153C24
	s_mov_b64 exec, s[20:21]                                   // 000000006E3C: BEFE0114
	global_atomic_add_f32 v6, v90, s[8:9] offset:8             // 000000006E40: DD348008 00085A06
	s_mov_b64 exec, s[36:37]                                   // 000000006E48: BEFE0124
	v_mov_b32_e32 v6, v67                                      // 000000006E4C: 7E0C0343
	s_mov_b64 s[60:61], 0                                      // 000000006E50: BEBC0180
	v_readlane_b32 s82, v3, 6                                  // 000000006E54: D2890052 00010D03
	s_and_b32 s82, s82, 0xffffff                               // 000000006E5C: 8652FF52 00FFFFFF
	s_cmp_lt_u32 s82, s66                                      // 000000006E64: BF0A4252
	s_cselect_b32 s20, s36, s60                                // 000000006E68: 85143C24
	v_readlane_b32 s82, v3, 7                                  // 000000006E6C: D2890052 00010F03
	s_and_b32 s82, s82, 0xffffff                               // 000000006E74: 8652FF52 00FFFFFF
	s_cmp_lt_u32 s82, s66                                      // 000000006E7C: BF0A4252
	s_cselect_b32 s21, s36, s60                                // 000000006E80: 85153C24
	s_mov_b64 exec, s[20:21]                                   // 000000006E84: BEFE0114
	global_atomic_add_f32 v6, v91, s[8:9] offset:8             // 000000006E88: DD348008 00085B06
	s_mov_b64 exec, s[36:37]                                   // 000000006E90: BEFE0124
	v_mov_b32_e32 v6, v68                                      // 000000006E94: 7E0C0344
	s_mov_b64 s[60:61], 0                                      // 000000006E98: BEBC0180
	v_readlane_b32 s82, v3, 8                                  // 000000006E9C: D2890052 00011103
	s_and_b32 s82, s82, 0xffffff                               // 000000006EA4: 8652FF52 00FFFFFF
	s_cmp_lt_u32 s82, s66                                      // 000000006EAC: BF0A4252
	s_cselect_b32 s20, s36, s60                                // 000000006EB0: 85143C24
	v_readlane_b32 s82, v3, 9                                  // 000000006EB4: D2890052 00011303
	s_and_b32 s82, s82, 0xffffff                               // 000000006EBC: 8652FF52 00FFFFFF
	s_cmp_lt_u32 s82, s66                                      // 000000006EC4: BF0A4252
	s_cselect_b32 s21, s36, s60                                // 000000006EC8: 85153C24
	s_mov_b64 exec, s[20:21]                                   // 000000006ECC: BEFE0114
	global_atomic_add_f32 v6, v94, s[8:9] offset:8             // 000000006ED0: DD348008 00085E06
	s_mov_b64 exec, s[36:37]                                   // 000000006ED8: BEFE0124
	v_mov_b32_e32 v6, v69                                      // 000000006EDC: 7E0C0345
	s_mov_b64 s[60:61], 0                                      // 000000006EE0: BEBC0180
	v_readlane_b32 s82, v3, 10                                 // 000000006EE4: D2890052 00011503
	s_and_b32 s82, s82, 0xffffff                               // 000000006EEC: 8652FF52 00FFFFFF
	s_cmp_lt_u32 s82, s66                                      // 000000006EF4: BF0A4252
	s_cselect_b32 s20, s36, s60                                // 000000006EF8: 85143C24
	v_readlane_b32 s82, v3, 11                                 // 000000006EFC: D2890052 00011703
	s_and_b32 s82, s82, 0xffffff                               // 000000006F04: 8652FF52 00FFFFFF
	s_cmp_lt_u32 s82, s66                                      // 000000006F0C: BF0A4252
	s_cselect_b32 s21, s36, s60                                // 000000006F10: 85153C24
	s_mov_b64 exec, s[20:21]                                   // 000000006F14: BEFE0114
	global_atomic_add_f32 v6, v95, s[8:9] offset:8             // 000000006F18: DD348008 00085F06
	s_mov_b64 exec, s[36:37]                                   // 000000006F20: BEFE0124
	v_mov_b32_e32 v6, v70                                      // 000000006F24: 7E0C0346
	s_mov_b64 s[60:61], 0                                      // 000000006F28: BEBC0180
	v_readlane_b32 s82, v3, 12                                 // 000000006F2C: D2890052 00011903
	s_and_b32 s82, s82, 0xffffff                               // 000000006F34: 8652FF52 00FFFFFF
	s_cmp_lt_u32 s82, s66                                      // 000000006F3C: BF0A4252
	s_cselect_b32 s20, s36, s60                                // 000000006F40: 85143C24
	v_readlane_b32 s82, v3, 13                                 // 000000006F44: D2890052 00011B03
	s_and_b32 s82, s82, 0xffffff                               // 000000006F4C: 8652FF52 00FFFFFF
	s_cmp_lt_u32 s82, s66                                      // 000000006F54: BF0A4252
	s_cselect_b32 s21, s36, s60                                // 000000006F58: 85153C24
	s_mov_b64 exec, s[20:21]                                   // 000000006F5C: BEFE0114
	global_atomic_add_f32 v6, v98, s[8:9] offset:8             // 000000006F60: DD348008 00086206
	s_mov_b64 exec, s[36:37]                                   // 000000006F68: BEFE0124
	v_mov_b32_e32 v6, v71                                      // 000000006F6C: 7E0C0347
	s_mov_b64 s[60:61], 0                                      // 000000006F70: BEBC0180
	v_readlane_b32 s82, v3, 14                                 // 000000006F74: D2890052 00011D03
	s_and_b32 s82, s82, 0xffffff                               // 000000006F7C: 8652FF52 00FFFFFF
	s_cmp_lt_u32 s82, s66                                      // 000000006F84: BF0A4252
	s_cselect_b32 s20, s36, s60                                // 000000006F88: 85143C24
	v_readlane_b32 s82, v3, 15                                 // 000000006F8C: D2890052 00011F03
	s_and_b32 s82, s82, 0xffffff                               // 000000006F94: 8652FF52 00FFFFFF
	s_cmp_lt_u32 s82, s66                                      // 000000006F9C: BF0A4252
	s_cselect_b32 s21, s36, s60                                // 000000006FA0: 85153C24
	s_mov_b64 exec, s[20:21]                                   // 000000006FA4: BEFE0114
	global_atomic_add_f32 v6, v99, s[8:9] offset:8             // 000000006FA8: DD348008 00086306
	s_mov_b64 exec, s[36:37]                                   // 000000006FB0: BEFE0124
	v_mov_b32_e32 v6, v72                                      // 000000006FB4: 7E0C0348
	s_mov_b64 s[60:61], 0                                      // 000000006FB8: BEBC0180
	v_readlane_b32 s82, v3, 16                                 // 000000006FBC: D2890052 00012103
	s_and_b32 s82, s82, 0xffffff                               // 000000006FC4: 8652FF52 00FFFFFF
	s_cmp_lt_u32 s82, s66                                      // 000000006FCC: BF0A4252
	s_cselect_b32 s20, s36, s60                                // 000000006FD0: 85143C24
	v_readlane_b32 s82, v3, 17                                 // 000000006FD4: D2890052 00012303
	s_and_b32 s82, s82, 0xffffff                               // 000000006FDC: 8652FF52 00FFFFFF
	s_cmp_lt_u32 s82, s66                                      // 000000006FE4: BF0A4252
	s_cselect_b32 s21, s36, s60                                // 000000006FE8: 85153C24
	s_mov_b64 exec, s[20:21]                                   // 000000006FEC: BEFE0114
	global_atomic_add_f32 v6, v102, s[8:9] offset:8            // 000000006FF0: DD348008 00086606
	s_mov_b64 exec, s[36:37]                                   // 000000006FF8: BEFE0124
	v_mov_b32_e32 v6, v73                                      // 000000006FFC: 7E0C0349
	s_mov_b64 s[60:61], 0                                      // 000000007000: BEBC0180
	v_readlane_b32 s82, v3, 18                                 // 000000007004: D2890052 00012503
	s_and_b32 s82, s82, 0xffffff                               // 00000000700C: 8652FF52 00FFFFFF
	s_cmp_lt_u32 s82, s66                                      // 000000007014: BF0A4252
	s_cselect_b32 s20, s36, s60                                // 000000007018: 85143C24
	v_readlane_b32 s82, v3, 19                                 // 00000000701C: D2890052 00012703
	s_and_b32 s82, s82, 0xffffff                               // 000000007024: 8652FF52 00FFFFFF
	s_cmp_lt_u32 s82, s66                                      // 00000000702C: BF0A4252
	s_cselect_b32 s21, s36, s60                                // 000000007030: 85153C24
	s_mov_b64 exec, s[20:21]                                   // 000000007034: BEFE0114
	global_atomic_add_f32 v6, v103, s[8:9] offset:8            // 000000007038: DD348008 00086706
	s_mov_b64 exec, s[36:37]                                   // 000000007040: BEFE0124
	v_mov_b32_e32 v6, v74                                      // 000000007044: 7E0C034A
	s_mov_b64 s[60:61], 0                                      // 000000007048: BEBC0180
	v_readlane_b32 s82, v3, 20                                 // 00000000704C: D2890052 00012903
	s_and_b32 s82, s82, 0xffffff                               // 000000007054: 8652FF52 00FFFFFF
	s_cmp_lt_u32 s82, s66                                      // 00000000705C: BF0A4252
	s_cselect_b32 s20, s36, s60                                // 000000007060: 85143C24
	v_readlane_b32 s82, v3, 21                                 // 000000007064: D2890052 00012B03
	s_and_b32 s82, s82, 0xffffff                               // 00000000706C: 8652FF52 00FFFFFF
	s_cmp_lt_u32 s82, s66                                      // 000000007074: BF0A4252
	s_cselect_b32 s21, s36, s60                                // 000000007078: 85153C24
	s_mov_b64 exec, s[20:21]                                   // 00000000707C: BEFE0114
	global_atomic_add_f32 v6, v106, s[8:9] offset:8            // 000000007080: DD348008 00086A06
	s_mov_b64 exec, s[36:37]                                   // 000000007088: BEFE0124
	v_mov_b32_e32 v6, v75                                      // 00000000708C: 7E0C034B
	s_mov_b64 s[60:61], 0                                      // 000000007090: BEBC0180
	v_readlane_b32 s82, v3, 22                                 // 000000007094: D2890052 00012D03
	s_and_b32 s82, s82, 0xffffff                               // 00000000709C: 8652FF52 00FFFFFF
	s_cmp_lt_u32 s82, s66                                      // 0000000070A4: BF0A4252
	s_cselect_b32 s20, s36, s60                                // 0000000070A8: 85143C24
	v_readlane_b32 s82, v3, 23                                 // 0000000070AC: D2890052 00012F03
	s_and_b32 s82, s82, 0xffffff                               // 0000000070B4: 8652FF52 00FFFFFF
	s_cmp_lt_u32 s82, s66                                      // 0000000070BC: BF0A4252
	s_cselect_b32 s21, s36, s60                                // 0000000070C0: 85153C24
	s_mov_b64 exec, s[20:21]                                   // 0000000070C4: BEFE0114
	global_atomic_add_f32 v6, v107, s[8:9] offset:8            // 0000000070C8: DD348008 00086B06
	s_mov_b64 exec, s[36:37]                                   // 0000000070D0: BEFE0124
	v_mov_b32_e32 v6, v76                                      // 0000000070D4: 7E0C034C
	s_mov_b64 s[60:61], 0                                      // 0000000070D8: BEBC0180
	v_readlane_b32 s82, v3, 24                                 // 0000000070DC: D2890052 00013103
	s_and_b32 s82, s82, 0xffffff                               // 0000000070E4: 8652FF52 00FFFFFF
	s_cmp_lt_u32 s82, s66                                      // 0000000070EC: BF0A4252
	s_cselect_b32 s20, s36, s60                                // 0000000070F0: 85143C24
	v_readlane_b32 s82, v3, 25                                 // 0000000070F4: D2890052 00013303
	s_and_b32 s82, s82, 0xffffff                               // 0000000070FC: 8652FF52 00FFFFFF
	s_cmp_lt_u32 s82, s66                                      // 000000007104: BF0A4252
	s_cselect_b32 s21, s36, s60                                // 000000007108: 85153C24
	s_mov_b64 exec, s[20:21]                                   // 00000000710C: BEFE0114
	global_atomic_add_f32 v6, v110, s[8:9] offset:8            // 000000007110: DD348008 00086E06
	s_mov_b64 exec, s[36:37]                                   // 000000007118: BEFE0124
	v_mov_b32_e32 v6, v77                                      // 00000000711C: 7E0C034D
	s_mov_b64 s[60:61], 0                                      // 000000007120: BEBC0180
	v_readlane_b32 s82, v3, 26                                 // 000000007124: D2890052 00013503
	s_and_b32 s82, s82, 0xffffff                               // 00000000712C: 8652FF52 00FFFFFF
	s_cmp_lt_u32 s82, s66                                      // 000000007134: BF0A4252
	s_cselect_b32 s20, s36, s60                                // 000000007138: 85143C24
	v_readlane_b32 s82, v3, 27                                 // 00000000713C: D2890052 00013703
	s_and_b32 s82, s82, 0xffffff                               // 000000007144: 8652FF52 00FFFFFF
	s_cmp_lt_u32 s82, s66                                      // 00000000714C: BF0A4252
	s_cselect_b32 s21, s36, s60                                // 000000007150: 85153C24
	s_mov_b64 exec, s[20:21]                                   // 000000007154: BEFE0114
	global_atomic_add_f32 v6, v111, s[8:9] offset:8            // 000000007158: DD348008 00086F06
	s_mov_b64 exec, s[36:37]                                   // 000000007160: BEFE0124
	v_mov_b32_e32 v6, v78                                      // 000000007164: 7E0C034E
	s_mov_b64 s[60:61], 0                                      // 000000007168: BEBC0180
	v_readlane_b32 s82, v3, 28                                 // 00000000716C: D2890052 00013903
	s_and_b32 s82, s82, 0xffffff                               // 000000007174: 8652FF52 00FFFFFF
	s_cmp_lt_u32 s82, s66                                      // 00000000717C: BF0A4252
	s_cselect_b32 s20, s36, s60                                // 000000007180: 85143C24
	v_readlane_b32 s82, v3, 29                                 // 000000007184: D2890052 00013B03
	s_and_b32 s82, s82, 0xffffff                               // 00000000718C: 8652FF52 00FFFFFF
	s_cmp_lt_u32 s82, s66                                      // 000000007194: BF0A4252
	s_cselect_b32 s21, s36, s60                                // 000000007198: 85153C24
	s_mov_b64 exec, s[20:21]                                   // 00000000719C: BEFE0114
	global_atomic_add_f32 v6, v114, s[8:9] offset:8            // 0000000071A0: DD348008 00087206
	s_mov_b64 exec, s[36:37]                                   // 0000000071A8: BEFE0124
	v_mov_b32_e32 v6, v79                                      // 0000000071AC: 7E0C034F
	s_mov_b64 s[60:61], 0                                      // 0000000071B0: BEBC0180
	v_readlane_b32 s82, v3, 30                                 // 0000000071B4: D2890052 00013D03
	s_and_b32 s82, s82, 0xffffff                               // 0000000071BC: 8652FF52 00FFFFFF
	s_cmp_lt_u32 s82, s66                                      // 0000000071C4: BF0A4252
	s_cselect_b32 s20, s36, s60                                // 0000000071C8: 85143C24
	v_readlane_b32 s82, v3, 31                                 // 0000000071CC: D2890052 00013F03
	s_and_b32 s82, s82, 0xffffff                               // 0000000071D4: 8652FF52 00FFFFFF
	s_cmp_lt_u32 s82, s66                                      // 0000000071DC: BF0A4252
	s_cselect_b32 s21, s36, s60                                // 0000000071E0: 85153C24
	s_mov_b64 exec, s[20:21]                                   // 0000000071E4: BEFE0114
	global_atomic_add_f32 v6, v115, s[8:9] offset:8            // 0000000071E8: DD348008 00087306
	s_mov_b64 exec, s[36:37]                                   // 0000000071F0: BEFE0124
	v_mov_b32_e32 v6, v80                                      // 0000000071F4: 7E0C0350
	s_mov_b64 s[60:61], 0                                      // 0000000071F8: BEBC0180
	v_readlane_b32 s82, v3, 32                                 // 0000000071FC: D2890052 00014103
	s_and_b32 s82, s82, 0xffffff                               // 000000007204: 8652FF52 00FFFFFF
	s_cmp_lt_u32 s82, s66                                      // 00000000720C: BF0A4252
	s_cselect_b32 s20, s36, s60                                // 000000007210: 85143C24
	v_readlane_b32 s82, v3, 33                                 // 000000007214: D2890052 00014303
	s_and_b32 s82, s82, 0xffffff                               // 00000000721C: 8652FF52 00FFFFFF
	s_cmp_lt_u32 s82, s66                                      // 000000007224: BF0A4252
	s_cselect_b32 s21, s36, s60                                // 000000007228: 85153C24
	s_mov_b64 exec, s[20:21]                                   // 00000000722C: BEFE0114
	global_atomic_add_f32 v6, v118, s[8:9] offset:8            // 000000007230: DD348008 00087606
	s_mov_b64 exec, s[36:37]                                   // 000000007238: BEFE0124
	v_mov_b32_e32 v6, v81                                      // 00000000723C: 7E0C0351
	s_mov_b64 s[60:61], 0                                      // 000000007240: BEBC0180
	v_readlane_b32 s82, v3, 34                                 // 000000007244: D2890052 00014503
	s_and_b32 s82, s82, 0xffffff                               // 00000000724C: 8652FF52 00FFFFFF
	s_cmp_lt_u32 s82, s66                                      // 000000007254: BF0A4252
	s_cselect_b32 s20, s36, s60                                // 000000007258: 85143C24
	v_readlane_b32 s82, v3, 35                                 // 00000000725C: D2890052 00014703
	s_and_b32 s82, s82, 0xffffff                               // 000000007264: 8652FF52 00FFFFFF
	s_cmp_lt_u32 s82, s66                                      // 00000000726C: BF0A4252
	s_cselect_b32 s21, s36, s60                                // 000000007270: 85153C24
	s_mov_b64 exec, s[20:21]                                   // 000000007274: BEFE0114
	global_atomic_add_f32 v6, v119, s[8:9] offset:8            // 000000007278: DD348008 00087706
	s_mov_b64 exec, s[36:37]                                   // 000000007280: BEFE0124
	ds_write_b64 v20, v[120:121]                               // 000000007284: D89A0000 00007814
	ds_write_b64 v20, v[124:125] offset:2176                   // 00000000728C: D89A0880 00007C14
	ds_write_b64 v20, v[128:129] offset:4352                   // 000000007294: D89A1100 00008014
	ds_write_b64 v20, v[132:133] offset:6528                   // 00000000729C: D89A1980 00008414
	ds_write_b64 v20, v[136:137] offset:8704                   // 0000000072A4: D89A2200 00008814
	ds_write_b64 v20, v[140:141] offset:10880                  // 0000000072AC: D89A2A80 00008C14
	ds_write_b64 v20, v[144:145] offset:13056                  // 0000000072B4: D89A3300 00009014
	ds_write_b64 v20, v[148:149] offset:15232                  // 0000000072BC: D89A3B80 00009414
	ds_write_b64 v20, v[152:153] offset:17408                  // 0000000072C4: D89A4400 00009814
	s_waitcnt lgkmcnt(0)                                       // 0000000072CC: BF8CC07F
	s_barrier                                                  // 0000000072D0: BF8A0000
	ds_read_b32 v120, v21                                      // 0000000072D4: D86C0000 78000015
	ds_read_b32 v121, v21 offset:64                            // 0000000072DC: D86C0040 79000015
	ds_read_b32 v124, v21 offset:2176                          // 0000000072E4: D86C0880 7C000015
	ds_read_b32 v125, v21 offset:2240                          // 0000000072EC: D86C08C0 7D000015
	ds_read_b32 v128, v21 offset:4352                          // 0000000072F4: D86C1100 80000015
	ds_read_b32 v129, v21 offset:4416                          // 0000000072FC: D86C1140 81000015
	ds_read_b32 v132, v21 offset:6528                          // 000000007304: D86C1980 84000015
	ds_read_b32 v133, v21 offset:6592                          // 00000000730C: D86C19C0 85000015
	ds_read_b32 v136, v21 offset:8704                          // 000000007314: D86C2200 88000015
	ds_read_b32 v137, v21 offset:8768                          // 00000000731C: D86C2240 89000015
	ds_read_b32 v140, v21 offset:10880                         // 000000007324: D86C2A80 8C000015
	ds_read_b32 v141, v21 offset:10944                         // 00000000732C: D86C2AC0 8D000015
	ds_read_b32 v144, v21 offset:13056                         // 000000007334: D86C3300 90000015
	ds_read_b32 v145, v21 offset:13120                         // 00000000733C: D86C3340 91000015
	ds_read_b32 v148, v21 offset:15232                         // 000000007344: D86C3B80 94000015
	ds_read_b32 v149, v21 offset:15296                         // 00000000734C: D86C3BC0 95000015
	ds_read_b32 v152, v21 offset:17408                         // 000000007354: D86C4400 98000015
	ds_read_b32 v153, v21 offset:17472                         // 00000000735C: D86C4440 99000015
	s_mul_i32 s60, s65, 4                                      // 000000007364: 923C8441
	s_add_u32 s8, s60, s8                                      // 000000007368: 8008083C
	s_addc_u32 s9, 0, s9                                       // 00000000736C: 82090980
	s_waitcnt lgkmcnt(0)                                       // 000000007370: BF8CC07F
	v_mov_b32_e32 v7, 0                                        // 000000007374: 7E0E0280
	s_mov_b64 exec, s[36:37]                                   // 000000007378: BEFE0124
	v_mov_b32_e32 v6, v64                                      // 00000000737C: 7E0C0340
	s_mov_b64 s[60:61], 0                                      // 000000007380: BEBC0180
	v_readlane_b32 s82, v3, 0                                  // 000000007384: D2890052 00010103
	s_and_b32 s82, s82, 0xffffff                               // 00000000738C: 8652FF52 00FFFFFF
	s_cmp_lt_u32 s82, s66                                      // 000000007394: BF0A4252
	s_cselect_b32 s20, s36, s60                                // 000000007398: 85143C24
	v_readlane_b32 s82, v3, 1                                  // 00000000739C: D2890052 00010303
	s_and_b32 s82, s82, 0xffffff                               // 0000000073A4: 8652FF52 00FFFFFF
	s_cmp_lt_u32 s82, s66                                      // 0000000073AC: BF0A4252
	s_cselect_b32 s21, s36, s60                                // 0000000073B0: 85153C24
	s_mov_b64 exec, s[20:21]                                   // 0000000073B4: BEFE0114
	global_atomic_add_f32 v6, v120, s[8:9]                     // 0000000073B8: DD348000 00087806
	s_mov_b64 exec, s[36:37]                                   // 0000000073C0: BEFE0124
	v_mov_b32_e32 v6, v65                                      // 0000000073C4: 7E0C0341
	s_mov_b64 s[60:61], 0                                      // 0000000073C8: BEBC0180
	v_readlane_b32 s82, v3, 2                                  // 0000000073CC: D2890052 00010503
	s_and_b32 s82, s82, 0xffffff                               // 0000000073D4: 8652FF52 00FFFFFF
	s_cmp_lt_u32 s82, s66                                      // 0000000073DC: BF0A4252
	s_cselect_b32 s20, s36, s60                                // 0000000073E0: 85143C24
	v_readlane_b32 s82, v3, 3                                  // 0000000073E4: D2890052 00010703
	s_and_b32 s82, s82, 0xffffff                               // 0000000073EC: 8652FF52 00FFFFFF
	s_cmp_lt_u32 s82, s66                                      // 0000000073F4: BF0A4252
	s_cselect_b32 s21, s36, s60                                // 0000000073F8: 85153C24
	s_mov_b64 exec, s[20:21]                                   // 0000000073FC: BEFE0114
	global_atomic_add_f32 v6, v121, s[8:9]                     // 000000007400: DD348000 00087906
	s_mov_b64 exec, s[36:37]                                   // 000000007408: BEFE0124
	v_mov_b32_e32 v6, v66                                      // 00000000740C: 7E0C0342
	s_mov_b64 s[60:61], 0                                      // 000000007410: BEBC0180
	v_readlane_b32 s82, v3, 4                                  // 000000007414: D2890052 00010903
	s_and_b32 s82, s82, 0xffffff                               // 00000000741C: 8652FF52 00FFFFFF
	s_cmp_lt_u32 s82, s66                                      // 000000007424: BF0A4252
	s_cselect_b32 s20, s36, s60                                // 000000007428: 85143C24
	v_readlane_b32 s82, v3, 5                                  // 00000000742C: D2890052 00010B03
	s_and_b32 s82, s82, 0xffffff                               // 000000007434: 8652FF52 00FFFFFF
	s_cmp_lt_u32 s82, s66                                      // 00000000743C: BF0A4252
	s_cselect_b32 s21, s36, s60                                // 000000007440: 85153C24
	s_mov_b64 exec, s[20:21]                                   // 000000007444: BEFE0114
	global_atomic_add_f32 v6, v124, s[8:9]                     // 000000007448: DD348000 00087C06
	s_mov_b64 exec, s[36:37]                                   // 000000007450: BEFE0124
	v_mov_b32_e32 v6, v67                                      // 000000007454: 7E0C0343
	s_mov_b64 s[60:61], 0                                      // 000000007458: BEBC0180
	v_readlane_b32 s82, v3, 6                                  // 00000000745C: D2890052 00010D03
	s_and_b32 s82, s82, 0xffffff                               // 000000007464: 8652FF52 00FFFFFF
	s_cmp_lt_u32 s82, s66                                      // 00000000746C: BF0A4252
	s_cselect_b32 s20, s36, s60                                // 000000007470: 85143C24
	v_readlane_b32 s82, v3, 7                                  // 000000007474: D2890052 00010F03
	s_and_b32 s82, s82, 0xffffff                               // 00000000747C: 8652FF52 00FFFFFF
	s_cmp_lt_u32 s82, s66                                      // 000000007484: BF0A4252
	s_cselect_b32 s21, s36, s60                                // 000000007488: 85153C24
	s_mov_b64 exec, s[20:21]                                   // 00000000748C: BEFE0114
	global_atomic_add_f32 v6, v125, s[8:9]                     // 000000007490: DD348000 00087D06
	s_mov_b64 exec, s[36:37]                                   // 000000007498: BEFE0124
	v_mov_b32_e32 v6, v68                                      // 00000000749C: 7E0C0344
	s_mov_b64 s[60:61], 0                                      // 0000000074A0: BEBC0180
	v_readlane_b32 s82, v3, 8                                  // 0000000074A4: D2890052 00011103
	s_and_b32 s82, s82, 0xffffff                               // 0000000074AC: 8652FF52 00FFFFFF
	s_cmp_lt_u32 s82, s66                                      // 0000000074B4: BF0A4252
	s_cselect_b32 s20, s36, s60                                // 0000000074B8: 85143C24
	v_readlane_b32 s82, v3, 9                                  // 0000000074BC: D2890052 00011303
	s_and_b32 s82, s82, 0xffffff                               // 0000000074C4: 8652FF52 00FFFFFF
	s_cmp_lt_u32 s82, s66                                      // 0000000074CC: BF0A4252
	s_cselect_b32 s21, s36, s60                                // 0000000074D0: 85153C24
	s_mov_b64 exec, s[20:21]                                   // 0000000074D4: BEFE0114
	global_atomic_add_f32 v6, v128, s[8:9]                     // 0000000074D8: DD348000 00088006
	s_mov_b64 exec, s[36:37]                                   // 0000000074E0: BEFE0124
	v_mov_b32_e32 v6, v69                                      // 0000000074E4: 7E0C0345
	s_mov_b64 s[60:61], 0                                      // 0000000074E8: BEBC0180
	v_readlane_b32 s82, v3, 10                                 // 0000000074EC: D2890052 00011503
	s_and_b32 s82, s82, 0xffffff                               // 0000000074F4: 8652FF52 00FFFFFF
	s_cmp_lt_u32 s82, s66                                      // 0000000074FC: BF0A4252
	s_cselect_b32 s20, s36, s60                                // 000000007500: 85143C24
	v_readlane_b32 s82, v3, 11                                 // 000000007504: D2890052 00011703
	s_and_b32 s82, s82, 0xffffff                               // 00000000750C: 8652FF52 00FFFFFF
	s_cmp_lt_u32 s82, s66                                      // 000000007514: BF0A4252
	s_cselect_b32 s21, s36, s60                                // 000000007518: 85153C24
	s_mov_b64 exec, s[20:21]                                   // 00000000751C: BEFE0114
	global_atomic_add_f32 v6, v129, s[8:9]                     // 000000007520: DD348000 00088106
	s_mov_b64 exec, s[36:37]                                   // 000000007528: BEFE0124
	v_mov_b32_e32 v6, v70                                      // 00000000752C: 7E0C0346
	s_mov_b64 s[60:61], 0                                      // 000000007530: BEBC0180
	v_readlane_b32 s82, v3, 12                                 // 000000007534: D2890052 00011903
	s_and_b32 s82, s82, 0xffffff                               // 00000000753C: 8652FF52 00FFFFFF
	s_cmp_lt_u32 s82, s66                                      // 000000007544: BF0A4252
	s_cselect_b32 s20, s36, s60                                // 000000007548: 85143C24
	v_readlane_b32 s82, v3, 13                                 // 00000000754C: D2890052 00011B03
	s_and_b32 s82, s82, 0xffffff                               // 000000007554: 8652FF52 00FFFFFF
	s_cmp_lt_u32 s82, s66                                      // 00000000755C: BF0A4252
	s_cselect_b32 s21, s36, s60                                // 000000007560: 85153C24
	s_mov_b64 exec, s[20:21]                                   // 000000007564: BEFE0114
	global_atomic_add_f32 v6, v132, s[8:9]                     // 000000007568: DD348000 00088406
	s_mov_b64 exec, s[36:37]                                   // 000000007570: BEFE0124
	v_mov_b32_e32 v6, v71                                      // 000000007574: 7E0C0347
	s_mov_b64 s[60:61], 0                                      // 000000007578: BEBC0180
	v_readlane_b32 s82, v3, 14                                 // 00000000757C: D2890052 00011D03
	s_and_b32 s82, s82, 0xffffff                               // 000000007584: 8652FF52 00FFFFFF
	s_cmp_lt_u32 s82, s66                                      // 00000000758C: BF0A4252
	s_cselect_b32 s20, s36, s60                                // 000000007590: 85143C24
	v_readlane_b32 s82, v3, 15                                 // 000000007594: D2890052 00011F03
	s_and_b32 s82, s82, 0xffffff                               // 00000000759C: 8652FF52 00FFFFFF
	s_cmp_lt_u32 s82, s66                                      // 0000000075A4: BF0A4252
	s_cselect_b32 s21, s36, s60                                // 0000000075A8: 85153C24
	s_mov_b64 exec, s[20:21]                                   // 0000000075AC: BEFE0114
	global_atomic_add_f32 v6, v133, s[8:9]                     // 0000000075B0: DD348000 00088506
	s_mov_b64 exec, s[36:37]                                   // 0000000075B8: BEFE0124
	v_mov_b32_e32 v6, v72                                      // 0000000075BC: 7E0C0348
	s_mov_b64 s[60:61], 0                                      // 0000000075C0: BEBC0180
	v_readlane_b32 s82, v3, 16                                 // 0000000075C4: D2890052 00012103
	s_and_b32 s82, s82, 0xffffff                               // 0000000075CC: 8652FF52 00FFFFFF
	s_cmp_lt_u32 s82, s66                                      // 0000000075D4: BF0A4252
	s_cselect_b32 s20, s36, s60                                // 0000000075D8: 85143C24
	v_readlane_b32 s82, v3, 17                                 // 0000000075DC: D2890052 00012303
	s_and_b32 s82, s82, 0xffffff                               // 0000000075E4: 8652FF52 00FFFFFF
	s_cmp_lt_u32 s82, s66                                      // 0000000075EC: BF0A4252
	s_cselect_b32 s21, s36, s60                                // 0000000075F0: 85153C24
	s_mov_b64 exec, s[20:21]                                   // 0000000075F4: BEFE0114
	global_atomic_add_f32 v6, v136, s[8:9]                     // 0000000075F8: DD348000 00088806
	s_mov_b64 exec, s[36:37]                                   // 000000007600: BEFE0124
	v_mov_b32_e32 v6, v73                                      // 000000007604: 7E0C0349
	s_mov_b64 s[60:61], 0                                      // 000000007608: BEBC0180
	v_readlane_b32 s82, v3, 18                                 // 00000000760C: D2890052 00012503
	s_and_b32 s82, s82, 0xffffff                               // 000000007614: 8652FF52 00FFFFFF
	s_cmp_lt_u32 s82, s66                                      // 00000000761C: BF0A4252
	s_cselect_b32 s20, s36, s60                                // 000000007620: 85143C24
	v_readlane_b32 s82, v3, 19                                 // 000000007624: D2890052 00012703
	s_and_b32 s82, s82, 0xffffff                               // 00000000762C: 8652FF52 00FFFFFF
	s_cmp_lt_u32 s82, s66                                      // 000000007634: BF0A4252
	s_cselect_b32 s21, s36, s60                                // 000000007638: 85153C24
	s_mov_b64 exec, s[20:21]                                   // 00000000763C: BEFE0114
	global_atomic_add_f32 v6, v137, s[8:9]                     // 000000007640: DD348000 00088906
	s_mov_b64 exec, s[36:37]                                   // 000000007648: BEFE0124
	v_mov_b32_e32 v6, v74                                      // 00000000764C: 7E0C034A
	s_mov_b64 s[60:61], 0                                      // 000000007650: BEBC0180
	v_readlane_b32 s82, v3, 20                                 // 000000007654: D2890052 00012903
	s_and_b32 s82, s82, 0xffffff                               // 00000000765C: 8652FF52 00FFFFFF
	s_cmp_lt_u32 s82, s66                                      // 000000007664: BF0A4252
	s_cselect_b32 s20, s36, s60                                // 000000007668: 85143C24
	v_readlane_b32 s82, v3, 21                                 // 00000000766C: D2890052 00012B03
	s_and_b32 s82, s82, 0xffffff                               // 000000007674: 8652FF52 00FFFFFF
	s_cmp_lt_u32 s82, s66                                      // 00000000767C: BF0A4252
	s_cselect_b32 s21, s36, s60                                // 000000007680: 85153C24
	s_mov_b64 exec, s[20:21]                                   // 000000007684: BEFE0114
	global_atomic_add_f32 v6, v140, s[8:9]                     // 000000007688: DD348000 00088C06
	s_mov_b64 exec, s[36:37]                                   // 000000007690: BEFE0124
	v_mov_b32_e32 v6, v75                                      // 000000007694: 7E0C034B
	s_mov_b64 s[60:61], 0                                      // 000000007698: BEBC0180
	v_readlane_b32 s82, v3, 22                                 // 00000000769C: D2890052 00012D03
	s_and_b32 s82, s82, 0xffffff                               // 0000000076A4: 8652FF52 00FFFFFF
	s_cmp_lt_u32 s82, s66                                      // 0000000076AC: BF0A4252
	s_cselect_b32 s20, s36, s60                                // 0000000076B0: 85143C24
	v_readlane_b32 s82, v3, 23                                 // 0000000076B4: D2890052 00012F03
	s_and_b32 s82, s82, 0xffffff                               // 0000000076BC: 8652FF52 00FFFFFF
	s_cmp_lt_u32 s82, s66                                      // 0000000076C4: BF0A4252
	s_cselect_b32 s21, s36, s60                                // 0000000076C8: 85153C24
	s_mov_b64 exec, s[20:21]                                   // 0000000076CC: BEFE0114
	global_atomic_add_f32 v6, v141, s[8:9]                     // 0000000076D0: DD348000 00088D06
	s_mov_b64 exec, s[36:37]                                   // 0000000076D8: BEFE0124
	v_mov_b32_e32 v6, v76                                      // 0000000076DC: 7E0C034C
	s_mov_b64 s[60:61], 0                                      // 0000000076E0: BEBC0180
	v_readlane_b32 s82, v3, 24                                 // 0000000076E4: D2890052 00013103
	s_and_b32 s82, s82, 0xffffff                               // 0000000076EC: 8652FF52 00FFFFFF
	s_cmp_lt_u32 s82, s66                                      // 0000000076F4: BF0A4252
	s_cselect_b32 s20, s36, s60                                // 0000000076F8: 85143C24
	v_readlane_b32 s82, v3, 25                                 // 0000000076FC: D2890052 00013303
	s_and_b32 s82, s82, 0xffffff                               // 000000007704: 8652FF52 00FFFFFF
	s_cmp_lt_u32 s82, s66                                      // 00000000770C: BF0A4252
	s_cselect_b32 s21, s36, s60                                // 000000007710: 85153C24
	s_mov_b64 exec, s[20:21]                                   // 000000007714: BEFE0114
	global_atomic_add_f32 v6, v144, s[8:9]                     // 000000007718: DD348000 00089006
	s_mov_b64 exec, s[36:37]                                   // 000000007720: BEFE0124
	v_mov_b32_e32 v6, v77                                      // 000000007724: 7E0C034D
	s_mov_b64 s[60:61], 0                                      // 000000007728: BEBC0180
	v_readlane_b32 s82, v3, 26                                 // 00000000772C: D2890052 00013503
	s_and_b32 s82, s82, 0xffffff                               // 000000007734: 8652FF52 00FFFFFF
	s_cmp_lt_u32 s82, s66                                      // 00000000773C: BF0A4252
	s_cselect_b32 s20, s36, s60                                // 000000007740: 85143C24
	v_readlane_b32 s82, v3, 27                                 // 000000007744: D2890052 00013703
	s_and_b32 s82, s82, 0xffffff                               // 00000000774C: 8652FF52 00FFFFFF
	s_cmp_lt_u32 s82, s66                                      // 000000007754: BF0A4252
	s_cselect_b32 s21, s36, s60                                // 000000007758: 85153C24
	s_mov_b64 exec, s[20:21]                                   // 00000000775C: BEFE0114
	global_atomic_add_f32 v6, v145, s[8:9]                     // 000000007760: DD348000 00089106
	s_mov_b64 exec, s[36:37]                                   // 000000007768: BEFE0124
	v_mov_b32_e32 v6, v78                                      // 00000000776C: 7E0C034E
	s_mov_b64 s[60:61], 0                                      // 000000007770: BEBC0180
	v_readlane_b32 s82, v3, 28                                 // 000000007774: D2890052 00013903
	s_and_b32 s82, s82, 0xffffff                               // 00000000777C: 8652FF52 00FFFFFF
	s_cmp_lt_u32 s82, s66                                      // 000000007784: BF0A4252
	s_cselect_b32 s20, s36, s60                                // 000000007788: 85143C24
	v_readlane_b32 s82, v3, 29                                 // 00000000778C: D2890052 00013B03
	s_and_b32 s82, s82, 0xffffff                               // 000000007794: 8652FF52 00FFFFFF
	s_cmp_lt_u32 s82, s66                                      // 00000000779C: BF0A4252
	s_cselect_b32 s21, s36, s60                                // 0000000077A0: 85153C24
	s_mov_b64 exec, s[20:21]                                   // 0000000077A4: BEFE0114
	global_atomic_add_f32 v6, v148, s[8:9]                     // 0000000077A8: DD348000 00089406
	s_mov_b64 exec, s[36:37]                                   // 0000000077B0: BEFE0124
	v_mov_b32_e32 v6, v79                                      // 0000000077B4: 7E0C034F
	s_mov_b64 s[60:61], 0                                      // 0000000077B8: BEBC0180
	v_readlane_b32 s82, v3, 30                                 // 0000000077BC: D2890052 00013D03
	s_and_b32 s82, s82, 0xffffff                               // 0000000077C4: 8652FF52 00FFFFFF
	s_cmp_lt_u32 s82, s66                                      // 0000000077CC: BF0A4252
	s_cselect_b32 s20, s36, s60                                // 0000000077D0: 85143C24
	v_readlane_b32 s82, v3, 31                                 // 0000000077D4: D2890052 00013F03
	s_and_b32 s82, s82, 0xffffff                               // 0000000077DC: 8652FF52 00FFFFFF
	s_cmp_lt_u32 s82, s66                                      // 0000000077E4: BF0A4252
	s_cselect_b32 s21, s36, s60                                // 0000000077E8: 85153C24
	s_mov_b64 exec, s[20:21]                                   // 0000000077EC: BEFE0114
	global_atomic_add_f32 v6, v149, s[8:9]                     // 0000000077F0: DD348000 00089506
	s_mov_b64 exec, s[36:37]                                   // 0000000077F8: BEFE0124
	v_mov_b32_e32 v6, v80                                      // 0000000077FC: 7E0C0350
	s_mov_b64 s[60:61], 0                                      // 000000007800: BEBC0180
	v_readlane_b32 s82, v3, 32                                 // 000000007804: D2890052 00014103
	s_and_b32 s82, s82, 0xffffff                               // 00000000780C: 8652FF52 00FFFFFF
	s_cmp_lt_u32 s82, s66                                      // 000000007814: BF0A4252
	s_cselect_b32 s20, s36, s60                                // 000000007818: 85143C24
	v_readlane_b32 s82, v3, 33                                 // 00000000781C: D2890052 00014303
	s_and_b32 s82, s82, 0xffffff                               // 000000007824: 8652FF52 00FFFFFF
	s_cmp_lt_u32 s82, s66                                      // 00000000782C: BF0A4252
	s_cselect_b32 s21, s36, s60                                // 000000007830: 85153C24
	s_mov_b64 exec, s[20:21]                                   // 000000007834: BEFE0114
	global_atomic_add_f32 v6, v152, s[8:9]                     // 000000007838: DD348000 00089806
	s_mov_b64 exec, s[36:37]                                   // 000000007840: BEFE0124
	v_mov_b32_e32 v6, v81                                      // 000000007844: 7E0C0351
	s_mov_b64 s[60:61], 0                                      // 000000007848: BEBC0180
	v_readlane_b32 s82, v3, 34                                 // 00000000784C: D2890052 00014503
	s_and_b32 s82, s82, 0xffffff                               // 000000007854: 8652FF52 00FFFFFF
	s_cmp_lt_u32 s82, s66                                      // 00000000785C: BF0A4252
	s_cselect_b32 s20, s36, s60                                // 000000007860: 85143C24
	v_readlane_b32 s82, v3, 35                                 // 000000007864: D2890052 00014703
	s_and_b32 s82, s82, 0xffffff                               // 00000000786C: 8652FF52 00FFFFFF
	s_cmp_lt_u32 s82, s66                                      // 000000007874: BF0A4252
	s_cselect_b32 s21, s36, s60                                // 000000007878: 85153C24
	s_mov_b64 exec, s[20:21]                                   // 00000000787C: BEFE0114
	global_atomic_add_f32 v6, v153, s[8:9]                     // 000000007880: DD348000 00089906
	s_mov_b64 exec, s[36:37]                                   // 000000007888: BEFE0124
	ds_write_b64 v20, v[122:123]                               // 00000000788C: D89A0000 00007A14
	ds_write_b64 v20, v[126:127] offset:2176                   // 000000007894: D89A0880 00007E14
	ds_write_b64 v20, v[130:131] offset:4352                   // 00000000789C: D89A1100 00008214
	ds_write_b64 v20, v[134:135] offset:6528                   // 0000000078A4: D89A1980 00008614
	ds_write_b64 v20, v[138:139] offset:8704                   // 0000000078AC: D89A2200 00008A14
	ds_write_b64 v20, v[142:143] offset:10880                  // 0000000078B4: D89A2A80 00008E14
	ds_write_b64 v20, v[146:147] offset:13056                  // 0000000078BC: D89A3300 00009214
	ds_write_b64 v20, v[150:151] offset:15232                  // 0000000078C4: D89A3B80 00009614
	ds_write_b64 v20, v[154:155] offset:17408                  // 0000000078CC: D89A4400 00009A14
	s_waitcnt lgkmcnt(0)                                       // 0000000078D4: BF8CC07F
	s_barrier                                                  // 0000000078D8: BF8A0000
	ds_read_b32 v122, v21                                      // 0000000078DC: D86C0000 7A000015
	ds_read_b32 v123, v21 offset:64                            // 0000000078E4: D86C0040 7B000015
	ds_read_b32 v126, v21 offset:2176                          // 0000000078EC: D86C0880 7E000015
	ds_read_b32 v127, v21 offset:2240                          // 0000000078F4: D86C08C0 7F000015
	ds_read_b32 v130, v21 offset:4352                          // 0000000078FC: D86C1100 82000015
	ds_read_b32 v131, v21 offset:4416                          // 000000007904: D86C1140 83000015
	ds_read_b32 v134, v21 offset:6528                          // 00000000790C: D86C1980 86000015
	ds_read_b32 v135, v21 offset:6592                          // 000000007914: D86C19C0 87000015
	ds_read_b32 v138, v21 offset:8704                          // 00000000791C: D86C2200 8A000015
	ds_read_b32 v139, v21 offset:8768                          // 000000007924: D86C2240 8B000015
	ds_read_b32 v142, v21 offset:10880                         // 00000000792C: D86C2A80 8E000015
	ds_read_b32 v143, v21 offset:10944                         // 000000007934: D86C2AC0 8F000015
	ds_read_b32 v146, v21 offset:13056                         // 00000000793C: D86C3300 92000015
	ds_read_b32 v147, v21 offset:13120                         // 000000007944: D86C3340 93000015
	ds_read_b32 v150, v21 offset:15232                         // 00000000794C: D86C3B80 96000015
	ds_read_b32 v151, v21 offset:15296                         // 000000007954: D86C3BC0 97000015
	ds_read_b32 v154, v21 offset:17408                         // 00000000795C: D86C4400 9A000015
	ds_read_b32 v155, v21 offset:17472                         // 000000007964: D86C4440 9B000015
	s_waitcnt lgkmcnt(0)                                       // 00000000796C: BF8CC07F
	v_mov_b32_e32 v7, 0                                        // 000000007970: 7E0E0280
	s_mov_b64 exec, s[36:37]                                   // 000000007974: BEFE0124
	v_mov_b32_e32 v6, v64                                      // 000000007978: 7E0C0340
	s_mov_b64 s[60:61], 0                                      // 00000000797C: BEBC0180
	v_readlane_b32 s82, v3, 0                                  // 000000007980: D2890052 00010103
	s_and_b32 s82, s82, 0xffffff                               // 000000007988: 8652FF52 00FFFFFF
	s_cmp_lt_u32 s82, s66                                      // 000000007990: BF0A4252
	s_cselect_b32 s20, s36, s60                                // 000000007994: 85143C24
	v_readlane_b32 s82, v3, 1                                  // 000000007998: D2890052 00010303
	s_and_b32 s82, s82, 0xffffff                               // 0000000079A0: 8652FF52 00FFFFFF
	s_cmp_lt_u32 s82, s66                                      // 0000000079A8: BF0A4252
	s_cselect_b32 s21, s36, s60                                // 0000000079AC: 85153C24
	s_mov_b64 exec, s[20:21]                                   // 0000000079B0: BEFE0114
	global_atomic_add_f32 v6, v122, s[8:9] offset:8            // 0000000079B4: DD348008 00087A06
	s_mov_b64 exec, s[36:37]                                   // 0000000079BC: BEFE0124
	v_mov_b32_e32 v6, v65                                      // 0000000079C0: 7E0C0341
	s_mov_b64 s[60:61], 0                                      // 0000000079C4: BEBC0180
	v_readlane_b32 s82, v3, 2                                  // 0000000079C8: D2890052 00010503
	s_and_b32 s82, s82, 0xffffff                               // 0000000079D0: 8652FF52 00FFFFFF
	s_cmp_lt_u32 s82, s66                                      // 0000000079D8: BF0A4252
	s_cselect_b32 s20, s36, s60                                // 0000000079DC: 85143C24
	v_readlane_b32 s82, v3, 3                                  // 0000000079E0: D2890052 00010703
	s_and_b32 s82, s82, 0xffffff                               // 0000000079E8: 8652FF52 00FFFFFF
	s_cmp_lt_u32 s82, s66                                      // 0000000079F0: BF0A4252
	s_cselect_b32 s21, s36, s60                                // 0000000079F4: 85153C24
	s_mov_b64 exec, s[20:21]                                   // 0000000079F8: BEFE0114
	global_atomic_add_f32 v6, v123, s[8:9] offset:8            // 0000000079FC: DD348008 00087B06
	s_mov_b64 exec, s[36:37]                                   // 000000007A04: BEFE0124
	v_mov_b32_e32 v6, v66                                      // 000000007A08: 7E0C0342
	s_mov_b64 s[60:61], 0                                      // 000000007A0C: BEBC0180
	v_readlane_b32 s82, v3, 4                                  // 000000007A10: D2890052 00010903
	s_and_b32 s82, s82, 0xffffff                               // 000000007A18: 8652FF52 00FFFFFF
	s_cmp_lt_u32 s82, s66                                      // 000000007A20: BF0A4252
	s_cselect_b32 s20, s36, s60                                // 000000007A24: 85143C24
	v_readlane_b32 s82, v3, 5                                  // 000000007A28: D2890052 00010B03
	s_and_b32 s82, s82, 0xffffff                               // 000000007A30: 8652FF52 00FFFFFF
	s_cmp_lt_u32 s82, s66                                      // 000000007A38: BF0A4252
	s_cselect_b32 s21, s36, s60                                // 000000007A3C: 85153C24
	s_mov_b64 exec, s[20:21]                                   // 000000007A40: BEFE0114
	global_atomic_add_f32 v6, v126, s[8:9] offset:8            // 000000007A44: DD348008 00087E06
	s_mov_b64 exec, s[36:37]                                   // 000000007A4C: BEFE0124
	v_mov_b32_e32 v6, v67                                      // 000000007A50: 7E0C0343
	s_mov_b64 s[60:61], 0                                      // 000000007A54: BEBC0180
	v_readlane_b32 s82, v3, 6                                  // 000000007A58: D2890052 00010D03
	s_and_b32 s82, s82, 0xffffff                               // 000000007A60: 8652FF52 00FFFFFF
	s_cmp_lt_u32 s82, s66                                      // 000000007A68: BF0A4252
	s_cselect_b32 s20, s36, s60                                // 000000007A6C: 85143C24
	v_readlane_b32 s82, v3, 7                                  // 000000007A70: D2890052 00010F03
	s_and_b32 s82, s82, 0xffffff                               // 000000007A78: 8652FF52 00FFFFFF
	s_cmp_lt_u32 s82, s66                                      // 000000007A80: BF0A4252
	s_cselect_b32 s21, s36, s60                                // 000000007A84: 85153C24
	s_mov_b64 exec, s[20:21]                                   // 000000007A88: BEFE0114
	global_atomic_add_f32 v6, v127, s[8:9] offset:8            // 000000007A8C: DD348008 00087F06
	s_mov_b64 exec, s[36:37]                                   // 000000007A94: BEFE0124
	v_mov_b32_e32 v6, v68                                      // 000000007A98: 7E0C0344
	s_mov_b64 s[60:61], 0                                      // 000000007A9C: BEBC0180
	v_readlane_b32 s82, v3, 8                                  // 000000007AA0: D2890052 00011103
	s_and_b32 s82, s82, 0xffffff                               // 000000007AA8: 8652FF52 00FFFFFF
	s_cmp_lt_u32 s82, s66                                      // 000000007AB0: BF0A4252
	s_cselect_b32 s20, s36, s60                                // 000000007AB4: 85143C24
	v_readlane_b32 s82, v3, 9                                  // 000000007AB8: D2890052 00011303
	s_and_b32 s82, s82, 0xffffff                               // 000000007AC0: 8652FF52 00FFFFFF
	s_cmp_lt_u32 s82, s66                                      // 000000007AC8: BF0A4252
	s_cselect_b32 s21, s36, s60                                // 000000007ACC: 85153C24
	s_mov_b64 exec, s[20:21]                                   // 000000007AD0: BEFE0114
	global_atomic_add_f32 v6, v130, s[8:9] offset:8            // 000000007AD4: DD348008 00088206
	s_mov_b64 exec, s[36:37]                                   // 000000007ADC: BEFE0124
	v_mov_b32_e32 v6, v69                                      // 000000007AE0: 7E0C0345
	s_mov_b64 s[60:61], 0                                      // 000000007AE4: BEBC0180
	v_readlane_b32 s82, v3, 10                                 // 000000007AE8: D2890052 00011503
	s_and_b32 s82, s82, 0xffffff                               // 000000007AF0: 8652FF52 00FFFFFF
	s_cmp_lt_u32 s82, s66                                      // 000000007AF8: BF0A4252
	s_cselect_b32 s20, s36, s60                                // 000000007AFC: 85143C24
	v_readlane_b32 s82, v3, 11                                 // 000000007B00: D2890052 00011703
	s_and_b32 s82, s82, 0xffffff                               // 000000007B08: 8652FF52 00FFFFFF
	s_cmp_lt_u32 s82, s66                                      // 000000007B10: BF0A4252
	s_cselect_b32 s21, s36, s60                                // 000000007B14: 85153C24
	s_mov_b64 exec, s[20:21]                                   // 000000007B18: BEFE0114
	global_atomic_add_f32 v6, v131, s[8:9] offset:8            // 000000007B1C: DD348008 00088306
	s_mov_b64 exec, s[36:37]                                   // 000000007B24: BEFE0124
	v_mov_b32_e32 v6, v70                                      // 000000007B28: 7E0C0346
	s_mov_b64 s[60:61], 0                                      // 000000007B2C: BEBC0180
	v_readlane_b32 s82, v3, 12                                 // 000000007B30: D2890052 00011903
	s_and_b32 s82, s82, 0xffffff                               // 000000007B38: 8652FF52 00FFFFFF
	s_cmp_lt_u32 s82, s66                                      // 000000007B40: BF0A4252
	s_cselect_b32 s20, s36, s60                                // 000000007B44: 85143C24
	v_readlane_b32 s82, v3, 13                                 // 000000007B48: D2890052 00011B03
	s_and_b32 s82, s82, 0xffffff                               // 000000007B50: 8652FF52 00FFFFFF
	s_cmp_lt_u32 s82, s66                                      // 000000007B58: BF0A4252
	s_cselect_b32 s21, s36, s60                                // 000000007B5C: 85153C24
	s_mov_b64 exec, s[20:21]                                   // 000000007B60: BEFE0114
	global_atomic_add_f32 v6, v134, s[8:9] offset:8            // 000000007B64: DD348008 00088606
	s_mov_b64 exec, s[36:37]                                   // 000000007B6C: BEFE0124
	v_mov_b32_e32 v6, v71                                      // 000000007B70: 7E0C0347
	s_mov_b64 s[60:61], 0                                      // 000000007B74: BEBC0180
	v_readlane_b32 s82, v3, 14                                 // 000000007B78: D2890052 00011D03
	s_and_b32 s82, s82, 0xffffff                               // 000000007B80: 8652FF52 00FFFFFF
	s_cmp_lt_u32 s82, s66                                      // 000000007B88: BF0A4252
	s_cselect_b32 s20, s36, s60                                // 000000007B8C: 85143C24
	v_readlane_b32 s82, v3, 15                                 // 000000007B90: D2890052 00011F03
	s_and_b32 s82, s82, 0xffffff                               // 000000007B98: 8652FF52 00FFFFFF
	s_cmp_lt_u32 s82, s66                                      // 000000007BA0: BF0A4252
	s_cselect_b32 s21, s36, s60                                // 000000007BA4: 85153C24
	s_mov_b64 exec, s[20:21]                                   // 000000007BA8: BEFE0114
	global_atomic_add_f32 v6, v135, s[8:9] offset:8            // 000000007BAC: DD348008 00088706
	s_mov_b64 exec, s[36:37]                                   // 000000007BB4: BEFE0124
	v_mov_b32_e32 v6, v72                                      // 000000007BB8: 7E0C0348
	s_mov_b64 s[60:61], 0                                      // 000000007BBC: BEBC0180
	v_readlane_b32 s82, v3, 16                                 // 000000007BC0: D2890052 00012103
	s_and_b32 s82, s82, 0xffffff                               // 000000007BC8: 8652FF52 00FFFFFF
	s_cmp_lt_u32 s82, s66                                      // 000000007BD0: BF0A4252
	s_cselect_b32 s20, s36, s60                                // 000000007BD4: 85143C24
	v_readlane_b32 s82, v3, 17                                 // 000000007BD8: D2890052 00012303
	s_and_b32 s82, s82, 0xffffff                               // 000000007BE0: 8652FF52 00FFFFFF
	s_cmp_lt_u32 s82, s66                                      // 000000007BE8: BF0A4252
	s_cselect_b32 s21, s36, s60                                // 000000007BEC: 85153C24
	s_mov_b64 exec, s[20:21]                                   // 000000007BF0: BEFE0114
	global_atomic_add_f32 v6, v138, s[8:9] offset:8            // 000000007BF4: DD348008 00088A06
	s_mov_b64 exec, s[36:37]                                   // 000000007BFC: BEFE0124
	v_mov_b32_e32 v6, v73                                      // 000000007C00: 7E0C0349
	s_mov_b64 s[60:61], 0                                      // 000000007C04: BEBC0180
	v_readlane_b32 s82, v3, 18                                 // 000000007C08: D2890052 00012503
	s_and_b32 s82, s82, 0xffffff                               // 000000007C10: 8652FF52 00FFFFFF
	s_cmp_lt_u32 s82, s66                                      // 000000007C18: BF0A4252
	s_cselect_b32 s20, s36, s60                                // 000000007C1C: 85143C24
	v_readlane_b32 s82, v3, 19                                 // 000000007C20: D2890052 00012703
	s_and_b32 s82, s82, 0xffffff                               // 000000007C28: 8652FF52 00FFFFFF
	s_cmp_lt_u32 s82, s66                                      // 000000007C30: BF0A4252
	s_cselect_b32 s21, s36, s60                                // 000000007C34: 85153C24
	s_mov_b64 exec, s[20:21]                                   // 000000007C38: BEFE0114
	global_atomic_add_f32 v6, v139, s[8:9] offset:8            // 000000007C3C: DD348008 00088B06
	s_mov_b64 exec, s[36:37]                                   // 000000007C44: BEFE0124
	v_mov_b32_e32 v6, v74                                      // 000000007C48: 7E0C034A
	s_mov_b64 s[60:61], 0                                      // 000000007C4C: BEBC0180
	v_readlane_b32 s82, v3, 20                                 // 000000007C50: D2890052 00012903
	s_and_b32 s82, s82, 0xffffff                               // 000000007C58: 8652FF52 00FFFFFF
	s_cmp_lt_u32 s82, s66                                      // 000000007C60: BF0A4252
	s_cselect_b32 s20, s36, s60                                // 000000007C64: 85143C24
	v_readlane_b32 s82, v3, 21                                 // 000000007C68: D2890052 00012B03
	s_and_b32 s82, s82, 0xffffff                               // 000000007C70: 8652FF52 00FFFFFF
	s_cmp_lt_u32 s82, s66                                      // 000000007C78: BF0A4252
	s_cselect_b32 s21, s36, s60                                // 000000007C7C: 85153C24
	s_mov_b64 exec, s[20:21]                                   // 000000007C80: BEFE0114
	global_atomic_add_f32 v6, v142, s[8:9] offset:8            // 000000007C84: DD348008 00088E06
	s_mov_b64 exec, s[36:37]                                   // 000000007C8C: BEFE0124
	v_mov_b32_e32 v6, v75                                      // 000000007C90: 7E0C034B
	s_mov_b64 s[60:61], 0                                      // 000000007C94: BEBC0180
	v_readlane_b32 s82, v3, 22                                 // 000000007C98: D2890052 00012D03
	s_and_b32 s82, s82, 0xffffff                               // 000000007CA0: 8652FF52 00FFFFFF
	s_cmp_lt_u32 s82, s66                                      // 000000007CA8: BF0A4252
	s_cselect_b32 s20, s36, s60                                // 000000007CAC: 85143C24
	v_readlane_b32 s82, v3, 23                                 // 000000007CB0: D2890052 00012F03
	s_and_b32 s82, s82, 0xffffff                               // 000000007CB8: 8652FF52 00FFFFFF
	s_cmp_lt_u32 s82, s66                                      // 000000007CC0: BF0A4252
	s_cselect_b32 s21, s36, s60                                // 000000007CC4: 85153C24
	s_mov_b64 exec, s[20:21]                                   // 000000007CC8: BEFE0114
	global_atomic_add_f32 v6, v143, s[8:9] offset:8            // 000000007CCC: DD348008 00088F06
	s_mov_b64 exec, s[36:37]                                   // 000000007CD4: BEFE0124
	v_mov_b32_e32 v6, v76                                      // 000000007CD8: 7E0C034C
	s_mov_b64 s[60:61], 0                                      // 000000007CDC: BEBC0180
	v_readlane_b32 s82, v3, 24                                 // 000000007CE0: D2890052 00013103
	s_and_b32 s82, s82, 0xffffff                               // 000000007CE8: 8652FF52 00FFFFFF
	s_cmp_lt_u32 s82, s66                                      // 000000007CF0: BF0A4252
	s_cselect_b32 s20, s36, s60                                // 000000007CF4: 85143C24
	v_readlane_b32 s82, v3, 25                                 // 000000007CF8: D2890052 00013303
	s_and_b32 s82, s82, 0xffffff                               // 000000007D00: 8652FF52 00FFFFFF
	s_cmp_lt_u32 s82, s66                                      // 000000007D08: BF0A4252
	s_cselect_b32 s21, s36, s60                                // 000000007D0C: 85153C24
	s_mov_b64 exec, s[20:21]                                   // 000000007D10: BEFE0114
	global_atomic_add_f32 v6, v146, s[8:9] offset:8            // 000000007D14: DD348008 00089206
	s_mov_b64 exec, s[36:37]                                   // 000000007D1C: BEFE0124
	v_mov_b32_e32 v6, v77                                      // 000000007D20: 7E0C034D
	s_mov_b64 s[60:61], 0                                      // 000000007D24: BEBC0180
	v_readlane_b32 s82, v3, 26                                 // 000000007D28: D2890052 00013503
	s_and_b32 s82, s82, 0xffffff                               // 000000007D30: 8652FF52 00FFFFFF
	s_cmp_lt_u32 s82, s66                                      // 000000007D38: BF0A4252
	s_cselect_b32 s20, s36, s60                                // 000000007D3C: 85143C24
	v_readlane_b32 s82, v3, 27                                 // 000000007D40: D2890052 00013703
	s_and_b32 s82, s82, 0xffffff                               // 000000007D48: 8652FF52 00FFFFFF
	s_cmp_lt_u32 s82, s66                                      // 000000007D50: BF0A4252
	s_cselect_b32 s21, s36, s60                                // 000000007D54: 85153C24
	s_mov_b64 exec, s[20:21]                                   // 000000007D58: BEFE0114
	global_atomic_add_f32 v6, v147, s[8:9] offset:8            // 000000007D5C: DD348008 00089306
	s_mov_b64 exec, s[36:37]                                   // 000000007D64: BEFE0124
	v_mov_b32_e32 v6, v78                                      // 000000007D68: 7E0C034E
	s_mov_b64 s[60:61], 0                                      // 000000007D6C: BEBC0180
	v_readlane_b32 s82, v3, 28                                 // 000000007D70: D2890052 00013903
	s_and_b32 s82, s82, 0xffffff                               // 000000007D78: 8652FF52 00FFFFFF
	s_cmp_lt_u32 s82, s66                                      // 000000007D80: BF0A4252
	s_cselect_b32 s20, s36, s60                                // 000000007D84: 85143C24
	v_readlane_b32 s82, v3, 29                                 // 000000007D88: D2890052 00013B03
	s_and_b32 s82, s82, 0xffffff                               // 000000007D90: 8652FF52 00FFFFFF
	s_cmp_lt_u32 s82, s66                                      // 000000007D98: BF0A4252
	s_cselect_b32 s21, s36, s60                                // 000000007D9C: 85153C24
	s_mov_b64 exec, s[20:21]                                   // 000000007DA0: BEFE0114
	global_atomic_add_f32 v6, v150, s[8:9] offset:8            // 000000007DA4: DD348008 00089606
	s_mov_b64 exec, s[36:37]                                   // 000000007DAC: BEFE0124
	v_mov_b32_e32 v6, v79                                      // 000000007DB0: 7E0C034F
	s_mov_b64 s[60:61], 0                                      // 000000007DB4: BEBC0180
	v_readlane_b32 s82, v3, 30                                 // 000000007DB8: D2890052 00013D03
	s_and_b32 s82, s82, 0xffffff                               // 000000007DC0: 8652FF52 00FFFFFF
	s_cmp_lt_u32 s82, s66                                      // 000000007DC8: BF0A4252
	s_cselect_b32 s20, s36, s60                                // 000000007DCC: 85143C24
	v_readlane_b32 s82, v3, 31                                 // 000000007DD0: D2890052 00013F03
	s_and_b32 s82, s82, 0xffffff                               // 000000007DD8: 8652FF52 00FFFFFF
	s_cmp_lt_u32 s82, s66                                      // 000000007DE0: BF0A4252
	s_cselect_b32 s21, s36, s60                                // 000000007DE4: 85153C24
	s_mov_b64 exec, s[20:21]                                   // 000000007DE8: BEFE0114
	global_atomic_add_f32 v6, v151, s[8:9] offset:8            // 000000007DEC: DD348008 00089706
	s_mov_b64 exec, s[36:37]                                   // 000000007DF4: BEFE0124
	v_mov_b32_e32 v6, v80                                      // 000000007DF8: 7E0C0350
	s_mov_b64 s[60:61], 0                                      // 000000007DFC: BEBC0180
	v_readlane_b32 s82, v3, 32                                 // 000000007E00: D2890052 00014103
	s_and_b32 s82, s82, 0xffffff                               // 000000007E08: 8652FF52 00FFFFFF
	s_cmp_lt_u32 s82, s66                                      // 000000007E10: BF0A4252
	s_cselect_b32 s20, s36, s60                                // 000000007E14: 85143C24
	v_readlane_b32 s82, v3, 33                                 // 000000007E18: D2890052 00014303
	s_and_b32 s82, s82, 0xffffff                               // 000000007E20: 8652FF52 00FFFFFF
	s_cmp_lt_u32 s82, s66                                      // 000000007E28: BF0A4252
	s_cselect_b32 s21, s36, s60                                // 000000007E2C: 85153C24
	s_mov_b64 exec, s[20:21]                                   // 000000007E30: BEFE0114
	global_atomic_add_f32 v6, v154, s[8:9] offset:8            // 000000007E34: DD348008 00089A06
	s_mov_b64 exec, s[36:37]                                   // 000000007E3C: BEFE0124
	v_mov_b32_e32 v6, v81                                      // 000000007E40: 7E0C0351
	s_mov_b64 s[60:61], 0                                      // 000000007E44: BEBC0180
	v_readlane_b32 s82, v3, 34                                 // 000000007E48: D2890052 00014503
	s_and_b32 s82, s82, 0xffffff                               // 000000007E50: 8652FF52 00FFFFFF
	s_cmp_lt_u32 s82, s66                                      // 000000007E58: BF0A4252
	s_cselect_b32 s20, s36, s60                                // 000000007E5C: 85143C24
	v_readlane_b32 s82, v3, 35                                 // 000000007E60: D2890052 00014703
	s_and_b32 s82, s82, 0xffffff                               // 000000007E68: 8652FF52 00FFFFFF
	s_cmp_lt_u32 s82, s66                                      // 000000007E70: BF0A4252
	s_cselect_b32 s21, s36, s60                                // 000000007E74: 85153C24
	s_mov_b64 exec, s[20:21]                                   // 000000007E78: BEFE0114
	global_atomic_add_f32 v6, v155, s[8:9] offset:8            // 000000007E7C: DD348008 00089B06
	s_mov_b64 exec, s[36:37]                                   // 000000007E84: BEFE0124
	s_branch label_269B                                        // 000000007E88: BF821175

0000000000007e8c <label_1526>:
	s_waitcnt vmcnt(0) lgkmcnt(0)                              // 000000007E8C: BF8C0070
	s_barrier                                                  // 000000007E90: BF8A0000
	v_mfma_f32_16x16x32_fp8_fp8 v[84:87], a[144:145], a[0:1], v[84:87]// 000000007E94: D3F30054 1D520190
	buffer_load_dwordx4 a[152:155], v82, s[84:87], 0 offen     // 000000007E9C: E05C1000 80959852
	v_mfma_f32_16x16x32_fp8_fp8 v[84:87], a[146:147], a[2:3], v[84:87]// 000000007EA4: D3F30054 1D520592
	v_mfma_f32_16x16x32_fp8_fp8 v[84:87], a[148:149], a[4:5], v[84:87]// 000000007EAC: D3F30054 1D520994
	v_mfma_f32_16x16x32_fp8_fp8 v[84:87], a[150:151], a[6:7], v[84:87]// 000000007EB4: D3F30054 1D520D96
	v_mfma_f32_16x16x32_fp8_fp8 v[88:91], a[144:145], a[8:9], v[88:91]// 000000007EBC: D3F30058 1D621190
	buffer_load_dwordx4 a[156:159], v82, s[84:87], 0 offen offset:1024// 000000007EC4: E05C1400 80959C52
	buffer_load_dword v64, s[20:23], 0 offen lds               // 000000007ECC: E0511000 80050040
	s_add_u32 m0, 0x100, s48                                   // 000000007ED4: 807C30FF 00000100
	v_mfma_f32_16x16x32_fp8_fp8 v[88:91], a[146:147], a[10:11], v[88:91]// 000000007EDC: D3F30058 1D621592
	v_mfma_f32_16x16x32_fp8_fp8 v[88:91], a[148:149], a[12:13], v[88:91]// 000000007EE4: D3F30058 1D621994
	buffer_load_dword v65, s[20:23], 0 offen lds               // 000000007EEC: E0511000 80050041
	s_add_u32 m0, 0x200, s48                                   // 000000007EF4: 807C30FF 00000200
	v_mfma_f32_16x16x32_fp8_fp8 v[88:91], a[150:151], a[14:15], v[88:91]// 000000007EFC: D3F30058 1D621D96
	v_mfma_f32_16x16x32_fp8_fp8 v[92:95], a[144:145], a[16:17], v[92:95]// 000000007F04: D3F3005C 1D722190
	buffer_load_dword v66, s[20:23], 0 offen lds               // 000000007F0C: E0511000 80050042
	s_add_u32 m0, 0x300, s48                                   // 000000007F14: 807C30FF 00000300
	v_mfma_f32_16x16x32_fp8_fp8 v[92:95], a[146:147], a[18:19], v[92:95]// 000000007F1C: D3F3005C 1D722592
	v_mfma_f32_16x16x32_fp8_fp8 v[92:95], a[148:149], a[20:21], v[92:95]// 000000007F24: D3F3005C 1D722994
	buffer_load_dword v67, s[20:23], 0 offen lds               // 000000007F2C: E0511000 80050043
	s_add_u32 m0, 0x400, s48                                   // 000000007F34: 807C30FF 00000400
	v_mfma_f32_16x16x32_fp8_fp8 v[92:95], a[150:151], a[22:23], v[92:95]// 000000007F3C: D3F3005C 1D722D96
	v_mfma_f32_16x16x32_fp8_fp8 v[96:99], a[144:145], a[24:25], v[96:99]// 000000007F44: D3F30060 1D823190
	buffer_load_dword v68, s[20:23], 0 offen lds               // 000000007F4C: E0511000 80050044
	s_add_u32 m0, 0x500, s48                                   // 000000007F54: 807C30FF 00000500
	v_mfma_f32_16x16x32_fp8_fp8 v[96:99], a[146:147], a[26:27], v[96:99]// 000000007F5C: D3F30060 1D823592
	v_mfma_f32_16x16x32_fp8_fp8 v[96:99], a[148:149], a[28:29], v[96:99]// 000000007F64: D3F30060 1D823994
	buffer_load_dword v69, s[20:23], 0 offen lds               // 000000007F6C: E0511000 80050045
	s_add_u32 m0, 0x600, s48                                   // 000000007F74: 807C30FF 00000600
	v_mfma_f32_16x16x32_fp8_fp8 v[96:99], a[150:151], a[30:31], v[96:99]// 000000007F7C: D3F30060 1D823D96
	v_mfma_f32_16x16x32_fp8_fp8 v[100:103], a[144:145], a[32:33], v[100:103]// 000000007F84: D3F30064 1D924190
	buffer_load_dword v70, s[20:23], 0 offen lds               // 000000007F8C: E0511000 80050046
	s_add_u32 m0, 0x700, s48                                   // 000000007F94: 807C30FF 00000700
	v_mfma_f32_16x16x32_fp8_fp8 v[100:103], a[146:147], a[34:35], v[100:103]// 000000007F9C: D3F30064 1D924592
	v_mfma_f32_16x16x32_fp8_fp8 v[100:103], a[148:149], a[36:37], v[100:103]// 000000007FA4: D3F30064 1D924994
	buffer_load_dword v71, s[20:23], 0 offen lds               // 000000007FAC: E0511000 80050047
	s_add_u32 m0, 0x800, s48                                   // 000000007FB4: 807C30FF 00000800
	v_mfma_f32_16x16x32_fp8_fp8 v[100:103], a[150:151], a[38:39], v[100:103]// 000000007FBC: D3F30064 1D924D96
	v_mfma_f32_16x16x32_fp8_fp8 v[104:107], a[144:145], a[40:41], v[104:107]// 000000007FC4: D3F30068 1DA25190
	buffer_load_dword v72, s[20:23], 0 offen lds               // 000000007FCC: E0511000 80050048
	s_add_u32 m0, 0x900, s48                                   // 000000007FD4: 807C30FF 00000900
	v_mfma_f32_16x16x32_fp8_fp8 v[104:107], a[146:147], a[42:43], v[104:107]// 000000007FDC: D3F30068 1DA25592
	v_mfma_f32_16x16x32_fp8_fp8 v[104:107], a[148:149], a[44:45], v[104:107]// 000000007FE4: D3F30068 1DA25994
	buffer_load_dword v73, s[20:23], 0 offen lds               // 000000007FEC: E0511000 80050049
	s_add_u32 m0, 0xa00, s48                                   // 000000007FF4: 807C30FF 00000A00
	v_mfma_f32_16x16x32_fp8_fp8 v[104:107], a[150:151], a[46:47], v[104:107]// 000000007FFC: D3F30068 1DA25D96
	v_mfma_f32_16x16x32_fp8_fp8 v[108:111], a[144:145], a[48:49], v[108:111]// 000000008004: D3F3006C 1DB26190
	buffer_load_dword v74, s[20:23], 0 offen lds               // 00000000800C: E0511000 8005004A
	s_add_u32 m0, 0xb00, s48                                   // 000000008014: 807C30FF 00000B00
	v_mfma_f32_16x16x32_fp8_fp8 v[108:111], a[146:147], a[50:51], v[108:111]// 00000000801C: D3F3006C 1DB26592
	v_mfma_f32_16x16x32_fp8_fp8 v[108:111], a[148:149], a[52:53], v[108:111]// 000000008024: D3F3006C 1DB26994
	buffer_load_dword v75, s[20:23], 0 offen lds               // 00000000802C: E0511000 8005004B
	s_add_u32 m0, 0xc00, s48                                   // 000000008034: 807C30FF 00000C00
	v_mfma_f32_16x16x32_fp8_fp8 v[108:111], a[150:151], a[54:55], v[108:111]// 00000000803C: D3F3006C 1DB26D96
	v_mfma_f32_16x16x32_fp8_fp8 v[112:115], a[144:145], a[56:57], v[112:115]// 000000008044: D3F30070 1DC27190
	buffer_load_dword v76, s[20:23], 0 offen lds               // 00000000804C: E0511000 8005004C
	s_add_u32 m0, 0xd00, s48                                   // 000000008054: 807C30FF 00000D00
	v_mfma_f32_16x16x32_fp8_fp8 v[112:115], a[146:147], a[58:59], v[112:115]// 00000000805C: D3F30070 1DC27592
	v_mfma_f32_16x16x32_fp8_fp8 v[112:115], a[148:149], a[60:61], v[112:115]// 000000008064: D3F30070 1DC27994
	buffer_load_dword v77, s[20:23], 0 offen lds               // 00000000806C: E0511000 8005004D
	s_add_u32 m0, 0xe00, s48                                   // 000000008074: 807C30FF 00000E00
	v_mfma_f32_16x16x32_fp8_fp8 v[112:115], a[150:151], a[62:63], v[112:115]// 00000000807C: D3F30070 1DC27D96
	v_mfma_f32_16x16x32_fp8_fp8 v[116:119], a[144:145], a[64:65], v[116:119]// 000000008084: D3F30074 1DD28190
	buffer_load_dword v78, s[20:23], 0 offen lds               // 00000000808C: E0511000 8005004E
	s_add_u32 m0, 0xf00, s48                                   // 000000008094: 807C30FF 00000F00
	v_mfma_f32_16x16x32_fp8_fp8 v[116:119], a[146:147], a[66:67], v[116:119]// 00000000809C: D3F30074 1DD28592
	s_add_u32 s60, 0x80, s80                                   // 0000000080A4: 803C50FF 00000080
	s_cmp_lt_u32 s60, s81                                      // 0000000080AC: BF0A513C
	s_cselect_b32 s83, s83, 0                                  // 0000000080B0: 85538053
	v_mfma_f32_16x16x32_fp8_fp8 v[116:119], a[148:149], a[68:69], v[116:119]// 0000000080B4: D3F30074 1DD28994
	buffer_load_dword v79, s[20:23], 0 offen lds               // 0000000080BC: E0511000 8005004F
	s_add_u32 m0, 0x1000, s48                                  // 0000000080C4: 807C30FF 00001000
	v_mfma_f32_16x16x32_fp8_fp8 v[116:119], a[150:151], a[70:71], v[116:119]// 0000000080CC: D3F30074 1DD28D96
	buffer_load_dword v80, s[20:23], 0 offen lds               // 0000000080D4: E0511000 80050050
	s_add_u32 m0, 0x1100, s48                                  // 0000000080DC: 807C30FF 00001100
	buffer_load_dword v81, s[20:23], 0 offen lds               // 0000000080E4: E0511000 80050051
	s_add_u32 m0, 0, s49                                       // 0000000080EC: 807C3180
	s_waitcnt vmcnt(18)                                        // 0000000080F0: BF8C4F72
	v_mfma_f32_16x16x32_fp8_fp8 v[120:123], a[152:153], a[0:1], v[120:123]// 0000000080F4: D3F30078 1DE20198
	buffer_load_dwordx4 a[144:147], v82, s[24:27], 0 offen     // 0000000080FC: E05C1000 80869052
	v_mfma_f32_16x16x32_fp8_fp8 v[120:123], a[154:155], a[2:3], v[120:123]// 000000008104: D3F30078 1DE2059A
	v_mfma_f32_16x16x32_fp8_fp8 v[120:123], a[156:157], a[4:5], v[120:123]// 00000000810C: D3F30078 1DE2099C
	ds_read_b128 a[72:75], v2 offset:18560                     // 000000008114: DBFE4880 48000002
	ds_read_b128 a[76:79], v2 offset:18624                     // 00000000811C: DBFE48C0 4C000002
	v_mfma_f32_16x16x32_fp8_fp8 v[120:123], a[158:159], a[6:7], v[120:123]// 000000008124: D3F30078 1DE20D9E
	v_mfma_f32_16x16x32_fp8_fp8 v[124:127], a[152:153], a[8:9], v[124:127]// 00000000812C: D3F3007C 1DF21198
	buffer_load_dwordx4 a[148:151], v82, s[24:27], 0 offen offset:1024// 000000008134: E05C1400 80869452
	v_mfma_f32_16x16x32_fp8_fp8 v[124:127], a[154:155], a[10:11], v[124:127]// 00000000813C: D3F3007C 1DF2159A
	v_mfma_f32_16x16x32_fp8_fp8 v[124:127], a[156:157], a[12:13], v[124:127]// 000000008144: D3F3007C 1DF2199C
	ds_read_b128 a[80:83], v2 offset:19072                     // 00000000814C: DBFE4A80 50000002
	ds_read_b128 a[84:87], v2 offset:19136                     // 000000008154: DBFE4AC0 54000002
	v_mfma_f32_16x16x32_fp8_fp8 v[124:127], a[158:159], a[14:15], v[124:127]// 00000000815C: D3F3007C 1DF21D9E
	v_mfma_f32_16x16x32_fp8_fp8 v[128:131], a[152:153], a[16:17], v[128:131]// 000000008164: D3F30080 1E022198
	v_mfma_f32_16x16x32_fp8_fp8 v[128:131], a[154:155], a[18:19], v[128:131]// 00000000816C: D3F30080 1E02259A
	v_mfma_f32_16x16x32_fp8_fp8 v[128:131], a[156:157], a[20:21], v[128:131]// 000000008174: D3F30080 1E02299C
	ds_read_b128 a[88:91], v2 offset:19584                     // 00000000817C: DBFE4C80 58000002
	ds_read_b128 a[92:95], v2 offset:19648                     // 000000008184: DBFE4CC0 5C000002
	v_mfma_f32_16x16x32_fp8_fp8 v[128:131], a[158:159], a[22:23], v[128:131]// 00000000818C: D3F30080 1E022D9E
	v_mfma_f32_16x16x32_fp8_fp8 v[132:135], a[152:153], a[24:25], v[132:135]// 000000008194: D3F30084 1E123198
	v_mfma_f32_16x16x32_fp8_fp8 v[132:135], a[154:155], a[26:27], v[132:135]// 00000000819C: D3F30084 1E12359A
	v_mfma_f32_16x16x32_fp8_fp8 v[132:135], a[156:157], a[28:29], v[132:135]// 0000000081A4: D3F30084 1E12399C
	ds_read_b128 a[96:99], v2 offset:20096                     // 0000000081AC: DBFE4E80 60000002
	ds_read_b128 a[100:103], v2 offset:20160                   // 0000000081B4: DBFE4EC0 64000002
	v_mfma_f32_16x16x32_fp8_fp8 v[132:135], a[158:159], a[30:31], v[132:135]// 0000000081BC: D3F30084 1E123D9E
	v_mfma_f32_16x16x32_fp8_fp8 v[136:139], a[152:153], a[32:33], v[136:139]// 0000000081C4: D3F30088 1E224198
	v_mfma_f32_16x16x32_fp8_fp8 v[136:139], a[154:155], a[34:35], v[136:139]// 0000000081CC: D3F30088 1E22459A
	v_mfma_f32_16x16x32_fp8_fp8 v[136:139], a[156:157], a[36:37], v[136:139]// 0000000081D4: D3F30088 1E22499C
	ds_read_b128 a[104:107], v2 offset:20608                   // 0000000081DC: DBFE5080 68000002
	ds_read_b128 a[108:111], v2 offset:20672                   // 0000000081E4: DBFE50C0 6C000002
	v_mfma_f32_16x16x32_fp8_fp8 v[136:139], a[158:159], a[38:39], v[136:139]// 0000000081EC: D3F30088 1E224D9E
	v_mfma_f32_16x16x32_fp8_fp8 v[140:143], a[152:153], a[40:41], v[140:143]// 0000000081F4: D3F3008C 1E325198
	v_mfma_f32_16x16x32_fp8_fp8 v[140:143], a[154:155], a[42:43], v[140:143]// 0000000081FC: D3F3008C 1E32559A
	v_mfma_f32_16x16x32_fp8_fp8 v[140:143], a[156:157], a[44:45], v[140:143]// 000000008204: D3F3008C 1E32599C
	ds_read_b128 a[112:115], v2 offset:21120                   // 00000000820C: DBFE5280 70000002
	ds_read_b128 a[116:119], v2 offset:21184                   // 000000008214: DBFE52C0 74000002
	v_mfma_f32_16x16x32_fp8_fp8 v[140:143], a[158:159], a[46:47], v[140:143]// 00000000821C: D3F3008C 1E325D9E
	v_mfma_f32_16x16x32_fp8_fp8 v[144:147], a[152:153], a[48:49], v[144:147]// 000000008224: D3F30090 1E426198
	v_mfma_f32_16x16x32_fp8_fp8 v[144:147], a[154:155], a[50:51], v[144:147]// 00000000822C: D3F30090 1E42659A
	v_mfma_f32_16x16x32_fp8_fp8 v[144:147], a[156:157], a[52:53], v[144:147]// 000000008234: D3F30090 1E42699C
	ds_read_b128 a[120:123], v2 offset:21632                   // 00000000823C: DBFE5480 78000002
	ds_read_b128 a[124:127], v2 offset:21696                   // 000000008244: DBFE54C0 7C000002
	v_mfma_f32_16x16x32_fp8_fp8 v[144:147], a[158:159], a[54:55], v[144:147]// 00000000824C: D3F30090 1E426D9E
	v_mfma_f32_16x16x32_fp8_fp8 v[148:151], a[152:153], a[56:57], v[148:151]// 000000008254: D3F30094 1E527198
	v_mfma_f32_16x16x32_fp8_fp8 v[148:151], a[154:155], a[58:59], v[148:151]// 00000000825C: D3F30094 1E52759A
	v_mfma_f32_16x16x32_fp8_fp8 v[148:151], a[156:157], a[60:61], v[148:151]// 000000008264: D3F30094 1E52799C
	ds_read_b128 a[128:131], v2 offset:22144                   // 00000000826C: DBFE5680 80000002
	ds_read_b128 a[132:135], v2 offset:22208                   // 000000008274: DBFE56C0 84000002
	s_add_u32 s60, 0x180, s80                                  // 00000000827C: 803C50FF 00000180
	s_cmp_lt_u32 s60, s81                                      // 000000008284: BF0A513C
	s_cselect_b32 s57, s57, 0                                  // 000000008288: 85398039
	v_mfma_f32_16x16x32_fp8_fp8 v[148:151], a[158:159], a[62:63], v[148:151]// 00000000828C: D3F30094 1E527D9E
	s_add_u32 s60, 0x100, s80                                  // 000000008294: 803C50FF 00000100
	s_cmp_lt_u32 s60, s81                                      // 00000000829C: BF0A513C
	s_cselect_b32 s58, s58, 0                                  // 0000000082A0: 853A803A
	v_mfma_f32_16x16x32_fp8_fp8 v[152:155], a[152:153], a[64:65], v[152:155]// 0000000082A4: D3F30098 1E628198
	s_add_u32 s24, s58, s24                                    // 0000000082AC: 8018183A
	s_addc_u32 s25, 0, s25                                     // 0000000082B0: 82191980
	v_mfma_f32_16x16x32_fp8_fp8 v[152:155], a[154:155], a[66:67], v[152:155]// 0000000082B4: D3F30098 1E62859A
	s_add_u32 s20, s57, s20                                    // 0000000082BC: 80141439
	s_addc_u32 s21, 0, s21                                     // 0000000082C0: 82151580
	v_mfma_f32_16x16x32_fp8_fp8 v[152:155], a[156:157], a[68:69], v[152:155]// 0000000082C4: D3F30098 1E62899C
	ds_read_b128 a[136:139], v2 offset:22656                   // 0000000082CC: DBFE5880 88000002
	ds_read_b128 a[140:143], v2 offset:22720                   // 0000000082D4: DBFE58C0 8C000002
	s_add_u32 s84, s83, s84                                    // 0000000082DC: 80545453
	s_addc_u32 s85, 0, s85                                     // 0000000082E0: 82555580
	v_mfma_f32_16x16x32_fp8_fp8 v[152:155], a[158:159], a[70:71], v[152:155]// 0000000082E4: D3F30098 1E628D9E
	s_addk_i32 s80, 0x80                                       // 0000000082EC: B7500080
	s_cmp_lt_i32 s80, s81                                      // 0000000082F0: BF045150
	s_cbranch_scc0 label_175D                                  // 0000000082F4: BF84011C
	s_waitcnt vmcnt(0) lgkmcnt(0)                              // 0000000082F8: BF8C0070
	s_barrier                                                  // 0000000082FC: BF8A0000
	v_mfma_f32_16x16x32_fp8_fp8 v[84:87], a[144:145], a[72:73], v[84:87]// 000000008300: D3F30054 1D529190
	buffer_load_dwordx4 a[152:155], v82, s[84:87], 0 offen     // 000000008308: E05C1000 80959852
	v_mfma_f32_16x16x32_fp8_fp8 v[84:87], a[146:147], a[74:75], v[84:87]// 000000008310: D3F30054 1D529592
	v_mfma_f32_16x16x32_fp8_fp8 v[84:87], a[148:149], a[76:77], v[84:87]// 000000008318: D3F30054 1D529994
	v_mfma_f32_16x16x32_fp8_fp8 v[84:87], a[150:151], a[78:79], v[84:87]// 000000008320: D3F30054 1D529D96
	v_mfma_f32_16x16x32_fp8_fp8 v[88:91], a[144:145], a[80:81], v[88:91]// 000000008328: D3F30058 1D62A190
	buffer_load_dwordx4 a[156:159], v82, s[84:87], 0 offen offset:1024// 000000008330: E05C1400 80959C52
	buffer_load_dword v64, s[20:23], 0 offen lds               // 000000008338: E0511000 80050040
	s_add_u32 m0, 0x100, s49                                   // 000000008340: 807C31FF 00000100
	v_mfma_f32_16x16x32_fp8_fp8 v[88:91], a[146:147], a[82:83], v[88:91]// 000000008348: D3F30058 1D62A592
	v_mfma_f32_16x16x32_fp8_fp8 v[88:91], a[148:149], a[84:85], v[88:91]// 000000008350: D3F30058 1D62A994
	buffer_load_dword v65, s[20:23], 0 offen lds               // 000000008358: E0511000 80050041
	s_add_u32 m0, 0x200, s49                                   // 000000008360: 807C31FF 00000200
	v_mfma_f32_16x16x32_fp8_fp8 v[88:91], a[150:151], a[86:87], v[88:91]// 000000008368: D3F30058 1D62AD96
	v_mfma_f32_16x16x32_fp8_fp8 v[92:95], a[144:145], a[88:89], v[92:95]// 000000008370: D3F3005C 1D72B190
	buffer_load_dword v66, s[20:23], 0 offen lds               // 000000008378: E0511000 80050042
	s_add_u32 m0, 0x300, s49                                   // 000000008380: 807C31FF 00000300
	v_mfma_f32_16x16x32_fp8_fp8 v[92:95], a[146:147], a[90:91], v[92:95]// 000000008388: D3F3005C 1D72B592
	v_mfma_f32_16x16x32_fp8_fp8 v[92:95], a[148:149], a[92:93], v[92:95]// 000000008390: D3F3005C 1D72B994
	buffer_load_dword v67, s[20:23], 0 offen lds               // 000000008398: E0511000 80050043
	s_add_u32 m0, 0x400, s49                                   // 0000000083A0: 807C31FF 00000400
	v_mfma_f32_16x16x32_fp8_fp8 v[92:95], a[150:151], a[94:95], v[92:95]// 0000000083A8: D3F3005C 1D72BD96
	v_mfma_f32_16x16x32_fp8_fp8 v[96:99], a[144:145], a[96:97], v[96:99]// 0000000083B0: D3F30060 1D82C190
	buffer_load_dword v68, s[20:23], 0 offen lds               // 0000000083B8: E0511000 80050044
	s_add_u32 m0, 0x500, s49                                   // 0000000083C0: 807C31FF 00000500
	v_mfma_f32_16x16x32_fp8_fp8 v[96:99], a[146:147], a[98:99], v[96:99]// 0000000083C8: D3F30060 1D82C592
	v_mfma_f32_16x16x32_fp8_fp8 v[96:99], a[148:149], a[100:101], v[96:99]// 0000000083D0: D3F30060 1D82C994
	buffer_load_dword v69, s[20:23], 0 offen lds               // 0000000083D8: E0511000 80050045
	s_add_u32 m0, 0x600, s49                                   // 0000000083E0: 807C31FF 00000600
	v_mfma_f32_16x16x32_fp8_fp8 v[96:99], a[150:151], a[102:103], v[96:99]// 0000000083E8: D3F30060 1D82CD96
	v_mfma_f32_16x16x32_fp8_fp8 v[100:103], a[144:145], a[104:105], v[100:103]// 0000000083F0: D3F30064 1D92D190
	buffer_load_dword v70, s[20:23], 0 offen lds               // 0000000083F8: E0511000 80050046
	s_add_u32 m0, 0x700, s49                                   // 000000008400: 807C31FF 00000700
	v_mfma_f32_16x16x32_fp8_fp8 v[100:103], a[146:147], a[106:107], v[100:103]// 000000008408: D3F30064 1D92D592
	v_mfma_f32_16x16x32_fp8_fp8 v[100:103], a[148:149], a[108:109], v[100:103]// 000000008410: D3F30064 1D92D994
	buffer_load_dword v71, s[20:23], 0 offen lds               // 000000008418: E0511000 80050047
	s_add_u32 m0, 0x800, s49                                   // 000000008420: 807C31FF 00000800
	v_mfma_f32_16x16x32_fp8_fp8 v[100:103], a[150:151], a[110:111], v[100:103]// 000000008428: D3F30064 1D92DD96
	v_mfma_f32_16x16x32_fp8_fp8 v[104:107], a[144:145], a[112:113], v[104:107]// 000000008430: D3F30068 1DA2E190
	buffer_load_dword v72, s[20:23], 0 offen lds               // 000000008438: E0511000 80050048
	s_add_u32 m0, 0x900, s49                                   // 000000008440: 807C31FF 00000900
	v_mfma_f32_16x16x32_fp8_fp8 v[104:107], a[146:147], a[114:115], v[104:107]// 000000008448: D3F30068 1DA2E592
	v_mfma_f32_16x16x32_fp8_fp8 v[104:107], a[148:149], a[116:117], v[104:107]// 000000008450: D3F30068 1DA2E994
	buffer_load_dword v73, s[20:23], 0 offen lds               // 000000008458: E0511000 80050049
	s_add_u32 m0, 0xa00, s49                                   // 000000008460: 807C31FF 00000A00
	v_mfma_f32_16x16x32_fp8_fp8 v[104:107], a[150:151], a[118:119], v[104:107]// 000000008468: D3F30068 1DA2ED96
	v_mfma_f32_16x16x32_fp8_fp8 v[108:111], a[144:145], a[120:121], v[108:111]// 000000008470: D3F3006C 1DB2F190
	buffer_load_dword v74, s[20:23], 0 offen lds               // 000000008478: E0511000 8005004A
	s_add_u32 m0, 0xb00, s49                                   // 000000008480: 807C31FF 00000B00
	v_mfma_f32_16x16x32_fp8_fp8 v[108:111], a[146:147], a[122:123], v[108:111]// 000000008488: D3F3006C 1DB2F592
	v_mfma_f32_16x16x32_fp8_fp8 v[108:111], a[148:149], a[124:125], v[108:111]// 000000008490: D3F3006C 1DB2F994
	buffer_load_dword v75, s[20:23], 0 offen lds               // 000000008498: E0511000 8005004B
	s_add_u32 m0, 0xc00, s49                                   // 0000000084A0: 807C31FF 00000C00
	v_mfma_f32_16x16x32_fp8_fp8 v[108:111], a[150:151], a[126:127], v[108:111]// 0000000084A8: D3F3006C 1DB2FD96
	v_mfma_f32_16x16x32_fp8_fp8 v[112:115], a[144:145], a[128:129], v[112:115]// 0000000084B0: D3F30070 1DC30190
	buffer_load_dword v76, s[20:23], 0 offen lds               // 0000000084B8: E0511000 8005004C
	s_add_u32 m0, 0xd00, s49                                   // 0000000084C0: 807C31FF 00000D00
	v_mfma_f32_16x16x32_fp8_fp8 v[112:115], a[146:147], a[130:131], v[112:115]// 0000000084C8: D3F30070 1DC30592
	v_mfma_f32_16x16x32_fp8_fp8 v[112:115], a[148:149], a[132:133], v[112:115]// 0000000084D0: D3F30070 1DC30994
	buffer_load_dword v77, s[20:23], 0 offen lds               // 0000000084D8: E0511000 8005004D
	s_add_u32 m0, 0xe00, s49                                   // 0000000084E0: 807C31FF 00000E00
	v_mfma_f32_16x16x32_fp8_fp8 v[112:115], a[150:151], a[134:135], v[112:115]// 0000000084E8: D3F30070 1DC30D96
	v_mfma_f32_16x16x32_fp8_fp8 v[116:119], a[144:145], a[136:137], v[116:119]// 0000000084F0: D3F30074 1DD31190
	buffer_load_dword v78, s[20:23], 0 offen lds               // 0000000084F8: E0511000 8005004E
	s_add_u32 m0, 0xf00, s49                                   // 000000008500: 807C31FF 00000F00
	v_mfma_f32_16x16x32_fp8_fp8 v[116:119], a[146:147], a[138:139], v[116:119]// 000000008508: D3F30074 1DD31592
	s_add_u32 s60, 0x80, s80                                   // 000000008510: 803C50FF 00000080
	s_cmp_lt_u32 s60, s81                                      // 000000008518: BF0A513C
	s_cselect_b32 s83, s83, 0                                  // 00000000851C: 85538053
	v_mfma_f32_16x16x32_fp8_fp8 v[116:119], a[148:149], a[140:141], v[116:119]// 000000008520: D3F30074 1DD31994
	buffer_load_dword v79, s[20:23], 0 offen lds               // 000000008528: E0511000 8005004F
	s_add_u32 m0, 0x1000, s49                                  // 000000008530: 807C31FF 00001000
	v_mfma_f32_16x16x32_fp8_fp8 v[116:119], a[150:151], a[142:143], v[116:119]// 000000008538: D3F30074 1DD31D96
	buffer_load_dword v80, s[20:23], 0 offen lds               // 000000008540: E0511000 80050050
	s_add_u32 m0, 0x1100, s49                                  // 000000008548: 807C31FF 00001100
	buffer_load_dword v81, s[20:23], 0 offen lds               // 000000008550: E0511000 80050051
	s_add_u32 m0, 0, s48                                       // 000000008558: 807C3080
	s_waitcnt vmcnt(18)                                        // 00000000855C: BF8C4F72
	v_mfma_f32_16x16x32_fp8_fp8 v[120:123], a[152:153], a[72:73], v[120:123]// 000000008560: D3F30078 1DE29198
	buffer_load_dwordx4 a[144:147], v82, s[24:27], 0 offen     // 000000008568: E05C1000 80869052
	v_mfma_f32_16x16x32_fp8_fp8 v[120:123], a[154:155], a[74:75], v[120:123]// 000000008570: D3F30078 1DE2959A
	v_mfma_f32_16x16x32_fp8_fp8 v[120:123], a[156:157], a[76:77], v[120:123]// 000000008578: D3F30078 1DE2999C
	ds_read_b128 a[0:3], v2                                    // 000000008580: DBFE0000 00000002
	ds_read_b128 a[4:7], v2 offset:64                          // 000000008588: DBFE0040 04000002
	v_mfma_f32_16x16x32_fp8_fp8 v[120:123], a[158:159], a[78:79], v[120:123]// 000000008590: D3F30078 1DE29D9E
	v_mfma_f32_16x16x32_fp8_fp8 v[124:127], a[152:153], a[80:81], v[124:127]// 000000008598: D3F3007C 1DF2A198
	buffer_load_dwordx4 a[148:151], v82, s[24:27], 0 offen offset:1024// 0000000085A0: E05C1400 80869452
	v_mfma_f32_16x16x32_fp8_fp8 v[124:127], a[154:155], a[82:83], v[124:127]// 0000000085A8: D3F3007C 1DF2A59A
	v_mfma_f32_16x16x32_fp8_fp8 v[124:127], a[156:157], a[84:85], v[124:127]// 0000000085B0: D3F3007C 1DF2A99C
	ds_read_b128 a[8:11], v2 offset:512                        // 0000000085B8: DBFE0200 08000002
	ds_read_b128 a[12:15], v2 offset:576                       // 0000000085C0: DBFE0240 0C000002
	v_mfma_f32_16x16x32_fp8_fp8 v[124:127], a[158:159], a[86:87], v[124:127]// 0000000085C8: D3F3007C 1DF2AD9E
	v_mfma_f32_16x16x32_fp8_fp8 v[128:131], a[152:153], a[88:89], v[128:131]// 0000000085D0: D3F30080 1E02B198
	v_mfma_f32_16x16x32_fp8_fp8 v[128:131], a[154:155], a[90:91], v[128:131]// 0000000085D8: D3F30080 1E02B59A
	v_mfma_f32_16x16x32_fp8_fp8 v[128:131], a[156:157], a[92:93], v[128:131]// 0000000085E0: D3F30080 1E02B99C
	ds_read_b128 a[16:19], v2 offset:1024                      // 0000000085E8: DBFE0400 10000002
	ds_read_b128 a[20:23], v2 offset:1088                      // 0000000085F0: DBFE0440 14000002
	v_mfma_f32_16x16x32_fp8_fp8 v[128:131], a[158:159], a[94:95], v[128:131]// 0000000085F8: D3F30080 1E02BD9E
	v_mfma_f32_16x16x32_fp8_fp8 v[132:135], a[152:153], a[96:97], v[132:135]// 000000008600: D3F30084 1E12C198
	v_mfma_f32_16x16x32_fp8_fp8 v[132:135], a[154:155], a[98:99], v[132:135]// 000000008608: D3F30084 1E12C59A
	v_mfma_f32_16x16x32_fp8_fp8 v[132:135], a[156:157], a[100:101], v[132:135]// 000000008610: D3F30084 1E12C99C
	ds_read_b128 a[24:27], v2 offset:1536                      // 000000008618: DBFE0600 18000002
	ds_read_b128 a[28:31], v2 offset:1600                      // 000000008620: DBFE0640 1C000002
	v_mfma_f32_16x16x32_fp8_fp8 v[132:135], a[158:159], a[102:103], v[132:135]// 000000008628: D3F30084 1E12CD9E
	v_mfma_f32_16x16x32_fp8_fp8 v[136:139], a[152:153], a[104:105], v[136:139]// 000000008630: D3F30088 1E22D198
	v_mfma_f32_16x16x32_fp8_fp8 v[136:139], a[154:155], a[106:107], v[136:139]// 000000008638: D3F30088 1E22D59A
	v_mfma_f32_16x16x32_fp8_fp8 v[136:139], a[156:157], a[108:109], v[136:139]// 000000008640: D3F30088 1E22D99C
	ds_read_b128 a[32:35], v2 offset:2048                      // 000000008648: DBFE0800 20000002
	ds_read_b128 a[36:39], v2 offset:2112                      // 000000008650: DBFE0840 24000002
	v_mfma_f32_16x16x32_fp8_fp8 v[136:139], a[158:159], a[110:111], v[136:139]// 000000008658: D3F30088 1E22DD9E
	v_mfma_f32_16x16x32_fp8_fp8 v[140:143], a[152:153], a[112:113], v[140:143]// 000000008660: D3F3008C 1E32E198
	v_mfma_f32_16x16x32_fp8_fp8 v[140:143], a[154:155], a[114:115], v[140:143]// 000000008668: D3F3008C 1E32E59A
	v_mfma_f32_16x16x32_fp8_fp8 v[140:143], a[156:157], a[116:117], v[140:143]// 000000008670: D3F3008C 1E32E99C
	ds_read_b128 a[40:43], v2 offset:2560                      // 000000008678: DBFE0A00 28000002
	ds_read_b128 a[44:47], v2 offset:2624                      // 000000008680: DBFE0A40 2C000002
	v_mfma_f32_16x16x32_fp8_fp8 v[140:143], a[158:159], a[118:119], v[140:143]// 000000008688: D3F3008C 1E32ED9E
	v_mfma_f32_16x16x32_fp8_fp8 v[144:147], a[152:153], a[120:121], v[144:147]// 000000008690: D3F30090 1E42F198
	v_mfma_f32_16x16x32_fp8_fp8 v[144:147], a[154:155], a[122:123], v[144:147]// 000000008698: D3F30090 1E42F59A
	v_mfma_f32_16x16x32_fp8_fp8 v[144:147], a[156:157], a[124:125], v[144:147]// 0000000086A0: D3F30090 1E42F99C
	ds_read_b128 a[48:51], v2 offset:3072                      // 0000000086A8: DBFE0C00 30000002
	ds_read_b128 a[52:55], v2 offset:3136                      // 0000000086B0: DBFE0C40 34000002
	v_mfma_f32_16x16x32_fp8_fp8 v[144:147], a[158:159], a[126:127], v[144:147]// 0000000086B8: D3F30090 1E42FD9E
	v_mfma_f32_16x16x32_fp8_fp8 v[148:151], a[152:153], a[128:129], v[148:151]// 0000000086C0: D3F30094 1E530198
	v_mfma_f32_16x16x32_fp8_fp8 v[148:151], a[154:155], a[130:131], v[148:151]// 0000000086C8: D3F30094 1E53059A
	v_mfma_f32_16x16x32_fp8_fp8 v[148:151], a[156:157], a[132:133], v[148:151]// 0000000086D0: D3F30094 1E53099C
	ds_read_b128 a[56:59], v2 offset:3584                      // 0000000086D8: DBFE0E00 38000002
	ds_read_b128 a[60:63], v2 offset:3648                      // 0000000086E0: DBFE0E40 3C000002
	s_add_u32 s60, 0x180, s80                                  // 0000000086E8: 803C50FF 00000180
	s_cmp_lt_u32 s60, s81                                      // 0000000086F0: BF0A513C
	s_cselect_b32 s57, s57, 0                                  // 0000000086F4: 85398039
	v_mfma_f32_16x16x32_fp8_fp8 v[148:151], a[158:159], a[134:135], v[148:151]// 0000000086F8: D3F30094 1E530D9E
	s_add_u32 s60, 0x100, s80                                  // 000000008700: 803C50FF 00000100
	s_cmp_lt_u32 s60, s81                                      // 000000008708: BF0A513C
	s_cselect_b32 s58, s58, 0                                  // 00000000870C: 853A803A
	v_mfma_f32_16x16x32_fp8_fp8 v[152:155], a[152:153], a[136:137], v[152:155]// 000000008710: D3F30098 1E631198
	s_add_u32 s24, s58, s24                                    // 000000008718: 8018183A
	s_addc_u32 s25, 0, s25                                     // 00000000871C: 82191980
	v_mfma_f32_16x16x32_fp8_fp8 v[152:155], a[154:155], a[138:139], v[152:155]// 000000008720: D3F30098 1E63159A
	s_add_u32 s20, s57, s20                                    // 000000008728: 80141439
	s_addc_u32 s21, 0, s21                                     // 00000000872C: 82151580
	v_mfma_f32_16x16x32_fp8_fp8 v[152:155], a[156:157], a[140:141], v[152:155]// 000000008730: D3F30098 1E63199C
	ds_read_b128 a[64:67], v2 offset:4096                      // 000000008738: DBFE1000 40000002
	ds_read_b128 a[68:71], v2 offset:4160                      // 000000008740: DBFE1040 44000002
	s_add_u32 s84, s83, s84                                    // 000000008748: 80545453
	s_addc_u32 s85, 0, s85                                     // 00000000874C: 82555580
	v_mfma_f32_16x16x32_fp8_fp8 v[152:155], a[158:159], a[142:143], v[152:155]// 000000008750: D3F30098 1E631D9E
	s_addk_i32 s80, 0x80                                       // 000000008758: B7500080
	s_cmp_lt_i32 s80, s81                                      // 00000000875C: BF045150
	s_cbranch_scc0 label_175D                                  // 000000008760: BF840001
	s_branch label_1526                                        // 000000008764: BF82FDC9

0000000000008768 <label_175D>:
	v_mul_f32_dpp v84, v24, v84 row_newbcast:0 row_mask:0xf bank_mask:0xf// 000000008768: 0AA8A8FA FF015018
	v_mul_f32_dpp v85, v24, v85 row_newbcast:1 row_mask:0xf bank_mask:0xf// 000000008770: 0AAAAAFA FF015118
	v_mul_f32_dpp v86, v24, v86 row_newbcast:2 row_mask:0xf bank_mask:0xf// 000000008778: 0AACACFA FF015218
	v_mul_f32_dpp v87, v24, v87 row_newbcast:3 row_mask:0xf bank_mask:0xf// 000000008780: 0AAEAEFA FF015318
	v_mul_f32_dpp v88, v24, v88 row_newbcast:0 row_mask:0xf bank_mask:0xf// 000000008788: 0AB0B0FA FF015018
	v_mul_f32_dpp v89, v24, v89 row_newbcast:1 row_mask:0xf bank_mask:0xf// 000000008790: 0AB2B2FA FF015118
	v_mul_f32_dpp v90, v24, v90 row_newbcast:2 row_mask:0xf bank_mask:0xf// 000000008798: 0AB4B4FA FF015218
	v_mul_f32_dpp v91, v24, v91 row_newbcast:3 row_mask:0xf bank_mask:0xf// 0000000087A0: 0AB6B6FA FF015318
	v_mul_f32_dpp v92, v24, v92 row_newbcast:0 row_mask:0xf bank_mask:0xf// 0000000087A8: 0AB8B8FA FF015018
	v_mul_f32_dpp v93, v24, v93 row_newbcast:1 row_mask:0xf bank_mask:0xf// 0000000087B0: 0ABABAFA FF015118
	v_mul_f32_dpp v94, v24, v94 row_newbcast:2 row_mask:0xf bank_mask:0xf// 0000000087B8: 0ABCBCFA FF015218
	v_mul_f32_dpp v95, v24, v95 row_newbcast:3 row_mask:0xf bank_mask:0xf// 0000000087C0: 0ABEBEFA FF015318
	v_mul_f32_dpp v96, v24, v96 row_newbcast:0 row_mask:0xf bank_mask:0xf// 0000000087C8: 0AC0C0FA FF015018
	v_mul_f32_dpp v97, v24, v97 row_newbcast:1 row_mask:0xf bank_mask:0xf// 0000000087D0: 0AC2C2FA FF015118
	v_mul_f32_dpp v98, v24, v98 row_newbcast:2 row_mask:0xf bank_mask:0xf// 0000000087D8: 0AC4C4FA FF015218
	v_mul_f32_dpp v99, v24, v99 row_newbcast:3 row_mask:0xf bank_mask:0xf// 0000000087E0: 0AC6C6FA FF015318
	v_mul_f32_dpp v100, v24, v100 row_newbcast:0 row_mask:0xf bank_mask:0xf// 0000000087E8: 0AC8C8FA FF015018
	v_mul_f32_dpp v101, v24, v101 row_newbcast:1 row_mask:0xf bank_mask:0xf// 0000000087F0: 0ACACAFA FF015118
	v_mul_f32_dpp v102, v24, v102 row_newbcast:2 row_mask:0xf bank_mask:0xf// 0000000087F8: 0ACCCCFA FF015218
	v_mul_f32_dpp v103, v24, v103 row_newbcast:3 row_mask:0xf bank_mask:0xf// 000000008800: 0ACECEFA FF015318
	v_mul_f32_dpp v104, v24, v104 row_newbcast:0 row_mask:0xf bank_mask:0xf// 000000008808: 0AD0D0FA FF015018
	v_mul_f32_dpp v105, v24, v105 row_newbcast:1 row_mask:0xf bank_mask:0xf// 000000008810: 0AD2D2FA FF015118
	v_mul_f32_dpp v106, v24, v106 row_newbcast:2 row_mask:0xf bank_mask:0xf// 000000008818: 0AD4D4FA FF015218
	v_mul_f32_dpp v107, v24, v107 row_newbcast:3 row_mask:0xf bank_mask:0xf// 000000008820: 0AD6D6FA FF015318
	v_mul_f32_dpp v108, v24, v108 row_newbcast:0 row_mask:0xf bank_mask:0xf// 000000008828: 0AD8D8FA FF015018
	v_mul_f32_dpp v109, v24, v109 row_newbcast:1 row_mask:0xf bank_mask:0xf// 000000008830: 0ADADAFA FF015118
	v_mul_f32_dpp v110, v24, v110 row_newbcast:2 row_mask:0xf bank_mask:0xf// 000000008838: 0ADCDCFA FF015218
	v_mul_f32_dpp v111, v24, v111 row_newbcast:3 row_mask:0xf bank_mask:0xf// 000000008840: 0ADEDEFA FF015318
	v_mul_f32_dpp v112, v24, v112 row_newbcast:0 row_mask:0xf bank_mask:0xf// 000000008848: 0AE0E0FA FF015018
	v_mul_f32_dpp v113, v24, v113 row_newbcast:1 row_mask:0xf bank_mask:0xf// 000000008850: 0AE2E2FA FF015118
	v_mul_f32_dpp v114, v24, v114 row_newbcast:2 row_mask:0xf bank_mask:0xf// 000000008858: 0AE4E4FA FF015218
	v_mul_f32_dpp v115, v24, v115 row_newbcast:3 row_mask:0xf bank_mask:0xf// 000000008860: 0AE6E6FA FF015318
	v_mul_f32_dpp v116, v24, v116 row_newbcast:0 row_mask:0xf bank_mask:0xf// 000000008868: 0AE8E8FA FF015018
	v_mul_f32_dpp v117, v24, v117 row_newbcast:1 row_mask:0xf bank_mask:0xf// 000000008870: 0AEAEAFA FF015118
	v_mul_f32_dpp v118, v24, v118 row_newbcast:2 row_mask:0xf bank_mask:0xf// 000000008878: 0AECECFA FF015218
	v_mul_f32_dpp v119, v24, v119 row_newbcast:3 row_mask:0xf bank_mask:0xf// 000000008880: 0AEEEEFA FF015318
	v_mul_f32_dpp v120, v26, v120 row_newbcast:0 row_mask:0xf bank_mask:0xf// 000000008888: 0AF0F0FA FF01501A
	v_mul_f32_dpp v121, v26, v121 row_newbcast:1 row_mask:0xf bank_mask:0xf// 000000008890: 0AF2F2FA FF01511A
	v_mul_f32_dpp v122, v26, v122 row_newbcast:2 row_mask:0xf bank_mask:0xf// 000000008898: 0AF4F4FA FF01521A
	v_mul_f32_dpp v123, v26, v123 row_newbcast:3 row_mask:0xf bank_mask:0xf// 0000000088A0: 0AF6F6FA FF01531A
	v_mul_f32_dpp v124, v26, v124 row_newbcast:0 row_mask:0xf bank_mask:0xf// 0000000088A8: 0AF8F8FA FF01501A
	v_mul_f32_dpp v125, v26, v125 row_newbcast:1 row_mask:0xf bank_mask:0xf// 0000000088B0: 0AFAFAFA FF01511A
	v_mul_f32_dpp v126, v26, v126 row_newbcast:2 row_mask:0xf bank_mask:0xf// 0000000088B8: 0AFCFCFA FF01521A
	v_mul_f32_dpp v127, v26, v127 row_newbcast:3 row_mask:0xf bank_mask:0xf// 0000000088C0: 0AFEFEFA FF01531A
	v_mul_f32_dpp v128, v26, v128 row_newbcast:0 row_mask:0xf bank_mask:0xf// 0000000088C8: 0B0100FA FF01501A
	v_mul_f32_dpp v129, v26, v129 row_newbcast:1 row_mask:0xf bank_mask:0xf// 0000000088D0: 0B0302FA FF01511A
	v_mul_f32_dpp v130, v26, v130 row_newbcast:2 row_mask:0xf bank_mask:0xf// 0000000088D8: 0B0504FA FF01521A
	v_mul_f32_dpp v131, v26, v131 row_newbcast:3 row_mask:0xf bank_mask:0xf// 0000000088E0: 0B0706FA FF01531A
	v_mul_f32_dpp v132, v26, v132 row_newbcast:0 row_mask:0xf bank_mask:0xf// 0000000088E8: 0B0908FA FF01501A
	v_mul_f32_dpp v133, v26, v133 row_newbcast:1 row_mask:0xf bank_mask:0xf// 0000000088F0: 0B0B0AFA FF01511A
	v_mul_f32_dpp v134, v26, v134 row_newbcast:2 row_mask:0xf bank_mask:0xf// 0000000088F8: 0B0D0CFA FF01521A
	v_mul_f32_dpp v135, v26, v135 row_newbcast:3 row_mask:0xf bank_mask:0xf// 000000008900: 0B0F0EFA FF01531A
	v_mul_f32_dpp v136, v26, v136 row_newbcast:0 row_mask:0xf bank_mask:0xf// 000000008908: 0B1110FA FF01501A
	v_mul_f32_dpp v137, v26, v137 row_newbcast:1 row_mask:0xf bank_mask:0xf// 000000008910: 0B1312FA FF01511A
	v_mul_f32_dpp v138, v26, v138 row_newbcast:2 row_mask:0xf bank_mask:0xf// 000000008918: 0B1514FA FF01521A
	v_mul_f32_dpp v139, v26, v139 row_newbcast:3 row_mask:0xf bank_mask:0xf// 000000008920: 0B1716FA FF01531A
	v_mul_f32_dpp v140, v26, v140 row_newbcast:0 row_mask:0xf bank_mask:0xf// 000000008928: 0B1918FA FF01501A
	v_mul_f32_dpp v141, v26, v141 row_newbcast:1 row_mask:0xf bank_mask:0xf// 000000008930: 0B1B1AFA FF01511A
	v_mul_f32_dpp v142, v26, v142 row_newbcast:2 row_mask:0xf bank_mask:0xf// 000000008938: 0B1D1CFA FF01521A
	v_mul_f32_dpp v143, v26, v143 row_newbcast:3 row_mask:0xf bank_mask:0xf// 000000008940: 0B1F1EFA FF01531A
	v_mul_f32_dpp v144, v26, v144 row_newbcast:0 row_mask:0xf bank_mask:0xf// 000000008948: 0B2120FA FF01501A
	v_mul_f32_dpp v145, v26, v145 row_newbcast:1 row_mask:0xf bank_mask:0xf// 000000008950: 0B2322FA FF01511A
	v_mul_f32_dpp v146, v26, v146 row_newbcast:2 row_mask:0xf bank_mask:0xf// 000000008958: 0B2524FA FF01521A
	v_mul_f32_dpp v147, v26, v147 row_newbcast:3 row_mask:0xf bank_mask:0xf// 000000008960: 0B2726FA FF01531A
	v_mul_f32_dpp v148, v26, v148 row_newbcast:0 row_mask:0xf bank_mask:0xf// 000000008968: 0B2928FA FF01501A
	v_mul_f32_dpp v149, v26, v149 row_newbcast:1 row_mask:0xf bank_mask:0xf// 000000008970: 0B2B2AFA FF01511A
	v_mul_f32_dpp v150, v26, v150 row_newbcast:2 row_mask:0xf bank_mask:0xf// 000000008978: 0B2D2CFA FF01521A
	v_mul_f32_dpp v151, v26, v151 row_newbcast:3 row_mask:0xf bank_mask:0xf// 000000008980: 0B2F2EFA FF01531A
	v_mul_f32_dpp v152, v26, v152 row_newbcast:0 row_mask:0xf bank_mask:0xf// 000000008988: 0B3130FA FF01501A
	v_mul_f32_dpp v153, v26, v153 row_newbcast:1 row_mask:0xf bank_mask:0xf// 000000008990: 0B3332FA FF01511A
	v_mul_f32_dpp v154, v26, v154 row_newbcast:2 row_mask:0xf bank_mask:0xf// 000000008998: 0B3534FA FF01521A
	v_mul_f32_dpp v155, v26, v155 row_newbcast:3 row_mask:0xf bank_mask:0xf// 0000000089A0: 0B3736FA FF01531A
	v_mul_f32_e32 v37, v37, v156                               // 0000000089A8: 0A4B3925
	v_mov_b32_e32 v4, v37                                      // 0000000089AC: 7E080325
	v_mov_b32_e32 v5, v4                                       // 0000000089B0: 7E0A0304
	v_pk_mul_f32 v[84:85], v[4:5], v[84:85]                    // 0000000089B4: D3B14054 1802A904
	v_pk_mul_f32 v[120:121], v[4:5], v[120:121]                // 0000000089BC: D3B14078 1802F104
	v_pk_mul_f32 v[86:87], v[4:5], v[86:87]                    // 0000000089C4: D3B14056 1802AD04
	v_pk_mul_f32 v[122:123], v[4:5], v[122:123]                // 0000000089CC: D3B1407A 1802F504
	v_mul_f32_e32 v38, v38, v157                               // 0000000089D4: 0A4D3B26
	v_mov_b32_e32 v4, v38                                      // 0000000089D8: 7E080326
	v_mov_b32_e32 v5, v4                                       // 0000000089DC: 7E0A0304
	v_pk_mul_f32 v[88:89], v[4:5], v[88:89]                    // 0000000089E0: D3B14058 1802B104
	v_pk_mul_f32 v[124:125], v[4:5], v[124:125]                // 0000000089E8: D3B1407C 1802F904
	v_pk_mul_f32 v[90:91], v[4:5], v[90:91]                    // 0000000089F0: D3B1405A 1802B504
	v_pk_mul_f32 v[126:127], v[4:5], v[126:127]                // 0000000089F8: D3B1407E 1802FD04
	v_mul_f32_e32 v39, v39, v158                               // 000000008A00: 0A4F3D27
	v_mov_b32_e32 v4, v39                                      // 000000008A04: 7E080327
	v_mov_b32_e32 v5, v4                                       // 000000008A08: 7E0A0304
	v_pk_mul_f32 v[92:93], v[4:5], v[92:93]                    // 000000008A0C: D3B1405C 1802B904
	v_pk_mul_f32 v[128:129], v[4:5], v[128:129]                // 000000008A14: D3B14080 18030104
	v_pk_mul_f32 v[94:95], v[4:5], v[94:95]                    // 000000008A1C: D3B1405E 1802BD04
	v_pk_mul_f32 v[130:131], v[4:5], v[130:131]                // 000000008A24: D3B14082 18030504
	v_mul_f32_e32 v40, v40, v159                               // 000000008A2C: 0A513F28
	v_mov_b32_e32 v4, v40                                      // 000000008A30: 7E080328
	v_mov_b32_e32 v5, v4                                       // 000000008A34: 7E0A0304
	v_pk_mul_f32 v[96:97], v[4:5], v[96:97]                    // 000000008A38: D3B14060 1802C104
	v_pk_mul_f32 v[132:133], v[4:5], v[132:133]                // 000000008A40: D3B14084 18030904
	v_pk_mul_f32 v[98:99], v[4:5], v[98:99]                    // 000000008A48: D3B14062 1802C504
	v_pk_mul_f32 v[134:135], v[4:5], v[134:135]                // 000000008A50: D3B14086 18030D04
	v_mul_f32_e32 v41, v41, v160                               // 000000008A58: 0A534129
	v_mov_b32_e32 v4, v41                                      // 000000008A5C: 7E080329
	v_mov_b32_e32 v5, v4                                       // 000000008A60: 7E0A0304
	v_pk_mul_f32 v[100:101], v[4:5], v[100:101]                // 000000008A64: D3B14064 1802C904
	v_pk_mul_f32 v[136:137], v[4:5], v[136:137]                // 000000008A6C: D3B14088 18031104
	v_pk_mul_f32 v[102:103], v[4:5], v[102:103]                // 000000008A74: D3B14066 1802CD04
	v_pk_mul_f32 v[138:139], v[4:5], v[138:139]                // 000000008A7C: D3B1408A 18031504
	v_mul_f32_e32 v42, v42, v161                               // 000000008A84: 0A55432A
	v_mov_b32_e32 v4, v42                                      // 000000008A88: 7E08032A
	v_mov_b32_e32 v5, v4                                       // 000000008A8C: 7E0A0304
	v_pk_mul_f32 v[104:105], v[4:5], v[104:105]                // 000000008A90: D3B14068 1802D104
	v_pk_mul_f32 v[140:141], v[4:5], v[140:141]                // 000000008A98: D3B1408C 18031904
	v_pk_mul_f32 v[106:107], v[4:5], v[106:107]                // 000000008AA0: D3B1406A 1802D504
	v_pk_mul_f32 v[142:143], v[4:5], v[142:143]                // 000000008AA8: D3B1408E 18031D04
	v_mul_f32_e32 v43, v43, v162                               // 000000008AB0: 0A57452B
	v_mov_b32_e32 v4, v43                                      // 000000008AB4: 7E08032B
	v_mov_b32_e32 v5, v4                                       // 000000008AB8: 7E0A0304
	v_pk_mul_f32 v[108:109], v[4:5], v[108:109]                // 000000008ABC: D3B1406C 1802D904
	v_pk_mul_f32 v[144:145], v[4:5], v[144:145]                // 000000008AC4: D3B14090 18032104
	v_pk_mul_f32 v[110:111], v[4:5], v[110:111]                // 000000008ACC: D3B1406E 1802DD04
	v_pk_mul_f32 v[146:147], v[4:5], v[146:147]                // 000000008AD4: D3B14092 18032504
	v_mul_f32_e32 v44, v44, v163                               // 000000008ADC: 0A59472C
	v_mov_b32_e32 v4, v44                                      // 000000008AE0: 7E08032C
	v_mov_b32_e32 v5, v4                                       // 000000008AE4: 7E0A0304
	v_pk_mul_f32 v[112:113], v[4:5], v[112:113]                // 000000008AE8: D3B14070 1802E104
	v_pk_mul_f32 v[148:149], v[4:5], v[148:149]                // 000000008AF0: D3B14094 18032904
	v_pk_mul_f32 v[114:115], v[4:5], v[114:115]                // 000000008AF8: D3B14072 1802E504
	v_pk_mul_f32 v[150:151], v[4:5], v[150:151]                // 000000008B00: D3B14096 18032D04
	v_mul_f32_e32 v45, v45, v164                               // 000000008B08: 0A5B492D
	v_mov_b32_e32 v4, v45                                      // 000000008B0C: 7E08032D
	v_mov_b32_e32 v5, v4                                       // 000000008B10: 7E0A0304
	v_pk_mul_f32 v[116:117], v[4:5], v[116:117]                // 000000008B14: D3B14074 1802E904
	v_pk_mul_f32 v[152:153], v[4:5], v[152:153]                // 000000008B1C: D3B14098 18033104
	v_pk_mul_f32 v[118:119], v[4:5], v[118:119]                // 000000008B24: D3B14076 1802ED04
	v_pk_mul_f32 v[154:155], v[4:5], v[154:155]                // 000000008B2C: D3B1409A 18033504
	s_cmp_eq_u32 s88, 0                                        // 000000008B34: BF068058
	s_cbranch_scc0 label_1EFD                                  // 000000008B38: BF8406AB
	s_cmp_eq_u32 s89, 0                                        // 000000008B3C: BF068059
	s_cbranch_scc1 label_19C1                                  // 000000008B40: BF85016D
	v_mov_b32_e32 v8, v1                                       // 000000008B44: 7E100301
	v_mov_b32_e32 v9, v1                                       // 000000008B48: 7E120301
	s_mov_b32 s60, s6                                          // 000000008B4C: BEBC0006
	s_mov_b32 s61, s6                                          // 000000008B50: BEBD0006
	v_pk_mul_f32 v[4:5], v[84:85], v[84:85]                    // 000000008B54: D3B14004 1802A954
	v_pk_mul_f32 v[6:7], v[86:87], v[86:87]                    // 000000008B5C: D3B14006 1802AD56
	v_pk_fma_f32 v[4:5], v[4:5], s[78:79], v[8:9]              // 000000008B64: D3B04004 1C209D04
	v_pk_fma_f32 v[6:7], v[6:7], s[78:79], v[8:9]              // 000000008B6C: D3B04006 1C209D06
	v_pk_mul_f32 v[4:5], v[4:5], v[84:85]                      // 000000008B74: D3B14004 1802A904
	v_pk_mul_f32 v[6:7], v[6:7], v[86:87]                      // 000000008B7C: D3B14006 1802AD06
	v_pk_mul_f32 v[4:5], v[4:5], s[60:61]                      // 000000008B84: D3B14004 18007904
	v_pk_mul_f32 v[6:7], v[6:7], s[60:61]                      // 000000008B8C: D3B14006 18007906
	v_exp_f32_e32 v4, v4                                       // 000000008B94: 7E084104
	v_exp_f32_e32 v5, v5                                       // 000000008B98: 7E0A4105
	v_exp_f32_e32 v6, v6                                       // 000000008B9C: 7E0C4106
	v_exp_f32_e32 v7, v7                                       // 000000008BA0: 7E0E4107
	v_add_f32_e64 v4, v4, 1.0                                  // 000000008BA4: D1010004 0001E504
	v_add_f32_e64 v5, v5, 1.0                                  // 000000008BAC: D1010005 0001E505
	v_add_f32_e64 v6, v6, 1.0                                  // 000000008BB4: D1010006 0001E506
	v_add_f32_e64 v7, v7, 1.0                                  // 000000008BBC: D1010007 0001E507
	v_rcp_f32_e32 v4, v4                                       // 000000008BC4: 7E084504
	v_rcp_f32_e32 v5, v5                                       // 000000008BC8: 7E0A4505
	v_rcp_f32_e32 v6, v6                                       // 000000008BCC: 7E0C4506
	v_rcp_f32_e32 v7, v7                                       // 000000008BD0: 7E0E4507
	v_mul_f32_e32 v84, v84, v4                                 // 000000008BD4: 0AA80954
	v_mul_f32_e32 v85, v85, v5                                 // 000000008BD8: 0AAA0B55
	v_mul_f32_e32 v86, v86, v6                                 // 000000008BDC: 0AAC0D56
	v_mul_f32_e32 v87, v87, v7                                 // 000000008BE0: 0AAE0F57
	v_mul_f32_e32 v84, v84, v120                               // 000000008BE4: 0AA8F154
	v_mul_f32_e32 v85, v85, v121                               // 000000008BE8: 0AAAF355
	v_mul_f32_e32 v86, v86, v122                               // 000000008BEC: 0AACF556
	v_mul_f32_e32 v87, v87, v123                               // 000000008BF0: 0AAEF757
	v_pk_mul_f32 v[4:5], v[88:89], v[88:89]                    // 000000008BF4: D3B14004 1802B158
	v_pk_mul_f32 v[6:7], v[90:91], v[90:91]                    // 000000008BFC: D3B14006 1802B55A
	v_pk_fma_f32 v[4:5], v[4:5], s[78:79], v[8:9]              // 000000008C04: D3B04004 1C209D04
	v_pk_fma_f32 v[6:7], v[6:7], s[78:79], v[8:9]              // 000000008C0C: D3B04006 1C209D06
	v_pk_mul_f32 v[4:5], v[4:5], v[88:89]                      // 000000008C14: D3B14004 1802B104
	v_pk_mul_f32 v[6:7], v[6:7], v[90:91]                      // 000000008C1C: D3B14006 1802B506
	v_pk_mul_f32 v[4:5], v[4:5], s[60:61]                      // 000000008C24: D3B14004 18007904
	v_pk_mul_f32 v[6:7], v[6:7], s[60:61]                      // 000000008C2C: D3B14006 18007906
	v_exp_f32_e32 v4, v4                                       // 000000008C34: 7E084104
	v_exp_f32_e32 v5, v5                                       // 000000008C38: 7E0A4105
	v_exp_f32_e32 v6, v6                                       // 000000008C3C: 7E0C4106
	v_exp_f32_e32 v7, v7                                       // 000000008C40: 7E0E4107
	v_add_f32_e64 v4, v4, 1.0                                  // 000000008C44: D1010004 0001E504
	v_add_f32_e64 v5, v5, 1.0                                  // 000000008C4C: D1010005 0001E505
	v_add_f32_e64 v6, v6, 1.0                                  // 000000008C54: D1010006 0001E506
	v_add_f32_e64 v7, v7, 1.0                                  // 000000008C5C: D1010007 0001E507
	v_rcp_f32_e32 v4, v4                                       // 000000008C64: 7E084504
	v_rcp_f32_e32 v5, v5                                       // 000000008C68: 7E0A4505
	v_rcp_f32_e32 v6, v6                                       // 000000008C6C: 7E0C4506
	v_rcp_f32_e32 v7, v7                                       // 000000008C70: 7E0E4507
	v_mul_f32_e32 v88, v88, v4                                 // 000000008C74: 0AB00958
	v_mul_f32_e32 v89, v89, v5                                 // 000000008C78: 0AB20B59
	v_mul_f32_e32 v90, v90, v6                                 // 000000008C7C: 0AB40D5A
	v_mul_f32_e32 v91, v91, v7                                 // 000000008C80: 0AB60F5B
	v_mul_f32_e32 v88, v88, v124                               // 000000008C84: 0AB0F958
	v_mul_f32_e32 v89, v89, v125                               // 000000008C88: 0AB2FB59
	v_mul_f32_e32 v90, v90, v126                               // 000000008C8C: 0AB4FD5A
	v_mul_f32_e32 v91, v91, v127                               // 000000008C90: 0AB6FF5B
	v_pk_mul_f32 v[4:5], v[92:93], v[92:93]                    // 000000008C94: D3B14004 1802B95C
	v_pk_mul_f32 v[6:7], v[94:95], v[94:95]                    // 000000008C9C: D3B14006 1802BD5E
	v_pk_fma_f32 v[4:5], v[4:5], s[78:79], v[8:9]              // 000000008CA4: D3B04004 1C209D04
	v_pk_fma_f32 v[6:7], v[6:7], s[78:79], v[8:9]              // 000000008CAC: D3B04006 1C209D06
	v_pk_mul_f32 v[4:5], v[4:5], v[92:93]                      // 000000008CB4: D3B14004 1802B904
	v_pk_mul_f32 v[6:7], v[6:7], v[94:95]                      // 000000008CBC: D3B14006 1802BD06
	v_pk_mul_f32 v[4:5], v[4:5], s[60:61]                      // 000000008CC4: D3B14004 18007904
	v_pk_mul_f32 v[6:7], v[6:7], s[60:61]                      // 000000008CCC: D3B14006 18007906
	v_exp_f32_e32 v4, v4                                       // 000000008CD4: 7E084104
	v_exp_f32_e32 v5, v5                                       // 000000008CD8: 7E0A4105
	v_exp_f32_e32 v6, v6                                       // 000000008CDC: 7E0C4106
	v_exp_f32_e32 v7, v7                                       // 000000008CE0: 7E0E4107
	v_add_f32_e64 v4, v4, 1.0                                  // 000000008CE4: D1010004 0001E504
	v_add_f32_e64 v5, v5, 1.0                                  // 000000008CEC: D1010005 0001E505
	v_add_f32_e64 v6, v6, 1.0                                  // 000000008CF4: D1010006 0001E506
	v_add_f32_e64 v7, v7, 1.0                                  // 000000008CFC: D1010007 0001E507
	v_rcp_f32_e32 v4, v4                                       // 000000008D04: 7E084504
	v_rcp_f32_e32 v5, v5                                       // 000000008D08: 7E0A4505
	v_rcp_f32_e32 v6, v6                                       // 000000008D0C: 7E0C4506
	v_rcp_f32_e32 v7, v7                                       // 000000008D10: 7E0E4507
	v_mul_f32_e32 v92, v92, v4                                 // 000000008D14: 0AB8095C
	v_mul_f32_e32 v93, v93, v5                                 // 000000008D18: 0ABA0B5D
	v_mul_f32_e32 v94, v94, v6                                 // 000000008D1C: 0ABC0D5E
	v_mul_f32_e32 v95, v95, v7                                 // 000000008D20: 0ABE0F5F
	v_mul_f32_e32 v92, v92, v128                               // 000000008D24: 0AB9015C
	v_mul_f32_e32 v93, v93, v129                               // 000000008D28: 0ABB035D
	v_mul_f32_e32 v94, v94, v130                               // 000000008D2C: 0ABD055E
	v_mul_f32_e32 v95, v95, v131                               // 000000008D30: 0ABF075F
	v_pk_mul_f32 v[4:5], v[96:97], v[96:97]                    // 000000008D34: D3B14004 1802C160
	v_pk_mul_f32 v[6:7], v[98:99], v[98:99]                    // 000000008D3C: D3B14006 1802C562
	v_pk_fma_f32 v[4:5], v[4:5], s[78:79], v[8:9]              // 000000008D44: D3B04004 1C209D04
	v_pk_fma_f32 v[6:7], v[6:7], s[78:79], v[8:9]              // 000000008D4C: D3B04006 1C209D06
	v_pk_mul_f32 v[4:5], v[4:5], v[96:97]                      // 000000008D54: D3B14004 1802C104
	v_pk_mul_f32 v[6:7], v[6:7], v[98:99]                      // 000000008D5C: D3B14006 1802C506
	v_pk_mul_f32 v[4:5], v[4:5], s[60:61]                      // 000000008D64: D3B14004 18007904
	v_pk_mul_f32 v[6:7], v[6:7], s[60:61]                      // 000000008D6C: D3B14006 18007906
	v_exp_f32_e32 v4, v4                                       // 000000008D74: 7E084104
	v_exp_f32_e32 v5, v5                                       // 000000008D78: 7E0A4105
	v_exp_f32_e32 v6, v6                                       // 000000008D7C: 7E0C4106
	v_exp_f32_e32 v7, v7                                       // 000000008D80: 7E0E4107
	v_add_f32_e64 v4, v4, 1.0                                  // 000000008D84: D1010004 0001E504
	v_add_f32_e64 v5, v5, 1.0                                  // 000000008D8C: D1010005 0001E505
	v_add_f32_e64 v6, v6, 1.0                                  // 000000008D94: D1010006 0001E506
	v_add_f32_e64 v7, v7, 1.0                                  // 000000008D9C: D1010007 0001E507
	v_rcp_f32_e32 v4, v4                                       // 000000008DA4: 7E084504
	v_rcp_f32_e32 v5, v5                                       // 000000008DA8: 7E0A4505
	v_rcp_f32_e32 v6, v6                                       // 000000008DAC: 7E0C4506
	v_rcp_f32_e32 v7, v7                                       // 000000008DB0: 7E0E4507
	v_mul_f32_e32 v96, v96, v4                                 // 000000008DB4: 0AC00960
	v_mul_f32_e32 v97, v97, v5                                 // 000000008DB8: 0AC20B61
	v_mul_f32_e32 v98, v98, v6                                 // 000000008DBC: 0AC40D62
	v_mul_f32_e32 v99, v99, v7                                 // 000000008DC0: 0AC60F63
	v_mul_f32_e32 v96, v96, v132                               // 000000008DC4: 0AC10960
	v_mul_f32_e32 v97, v97, v133                               // 000000008DC8: 0AC30B61
	v_mul_f32_e32 v98, v98, v134                               // 000000008DCC: 0AC50D62
	v_mul_f32_e32 v99, v99, v135                               // 000000008DD0: 0AC70F63
	v_pk_mul_f32 v[4:5], v[100:101], v[100:101]                // 000000008DD4: D3B14004 1802C964
	v_pk_mul_f32 v[6:7], v[102:103], v[102:103]                // 000000008DDC: D3B14006 1802CD66
	v_pk_fma_f32 v[4:5], v[4:5], s[78:79], v[8:9]              // 000000008DE4: D3B04004 1C209D04
	v_pk_fma_f32 v[6:7], v[6:7], s[78:79], v[8:9]              // 000000008DEC: D3B04006 1C209D06
	v_pk_mul_f32 v[4:5], v[4:5], v[100:101]                    // 000000008DF4: D3B14004 1802C904
	v_pk_mul_f32 v[6:7], v[6:7], v[102:103]                    // 000000008DFC: D3B14006 1802CD06
	v_pk_mul_f32 v[4:5], v[4:5], s[60:61]                      // 000000008E04: D3B14004 18007904
	v_pk_mul_f32 v[6:7], v[6:7], s[60:61]                      // 000000008E0C: D3B14006 18007906
	v_exp_f32_e32 v4, v4                                       // 000000008E14: 7E084104
	v_exp_f32_e32 v5, v5                                       // 000000008E18: 7E0A4105
	v_exp_f32_e32 v6, v6                                       // 000000008E1C: 7E0C4106
	v_exp_f32_e32 v7, v7                                       // 000000008E20: 7E0E4107
	v_add_f32_e64 v4, v4, 1.0                                  // 000000008E24: D1010004 0001E504
	v_add_f32_e64 v5, v5, 1.0                                  // 000000008E2C: D1010005 0001E505
	v_add_f32_e64 v6, v6, 1.0                                  // 000000008E34: D1010006 0001E506
	v_add_f32_e64 v7, v7, 1.0                                  // 000000008E3C: D1010007 0001E507
	v_rcp_f32_e32 v4, v4                                       // 000000008E44: 7E084504
	v_rcp_f32_e32 v5, v5                                       // 000000008E48: 7E0A4505
	v_rcp_f32_e32 v6, v6                                       // 000000008E4C: 7E0C4506
	v_rcp_f32_e32 v7, v7                                       // 000000008E50: 7E0E4507
	v_mul_f32_e32 v100, v100, v4                               // 000000008E54: 0AC80964
	v_mul_f32_e32 v101, v101, v5                               // 000000008E58: 0ACA0B65
	v_mul_f32_e32 v102, v102, v6                               // 000000008E5C: 0ACC0D66
	v_mul_f32_e32 v103, v103, v7                               // 000000008E60: 0ACE0F67
	v_mul_f32_e32 v100, v100, v136                             // 000000008E64: 0AC91164
	v_mul_f32_e32 v101, v101, v137                             // 000000008E68: 0ACB1365
	v_mul_f32_e32 v102, v102, v138                             // 000000008E6C: 0ACD1566
	v_mul_f32_e32 v103, v103, v139                             // 000000008E70: 0ACF1767
	v_pk_mul_f32 v[4:5], v[104:105], v[104:105]                // 000000008E74: D3B14004 1802D168
	v_pk_mul_f32 v[6:7], v[106:107], v[106:107]                // 000000008E7C: D3B14006 1802D56A
	v_pk_fma_f32 v[4:5], v[4:5], s[78:79], v[8:9]              // 000000008E84: D3B04004 1C209D04
	v_pk_fma_f32 v[6:7], v[6:7], s[78:79], v[8:9]              // 000000008E8C: D3B04006 1C209D06
	v_pk_mul_f32 v[4:5], v[4:5], v[104:105]                    // 000000008E94: D3B14004 1802D104
	v_pk_mul_f32 v[6:7], v[6:7], v[106:107]                    // 000000008E9C: D3B14006 1802D506
	v_pk_mul_f32 v[4:5], v[4:5], s[60:61]                      // 000000008EA4: D3B14004 18007904
	v_pk_mul_f32 v[6:7], v[6:7], s[60:61]                      // 000000008EAC: D3B14006 18007906
	v_exp_f32_e32 v4, v4                                       // 000000008EB4: 7E084104
	v_exp_f32_e32 v5, v5                                       // 000000008EB8: 7E0A4105
	v_exp_f32_e32 v6, v6                                       // 000000008EBC: 7E0C4106
	v_exp_f32_e32 v7, v7                                       // 000000008EC0: 7E0E4107
	v_add_f32_e64 v4, v4, 1.0                                  // 000000008EC4: D1010004 0001E504
	v_add_f32_e64 v5, v5, 1.0                                  // 000000008ECC: D1010005 0001E505
	v_add_f32_e64 v6, v6, 1.0                                  // 000000008ED4: D1010006 0001E506
	v_add_f32_e64 v7, v7, 1.0                                  // 000000008EDC: D1010007 0001E507
	v_rcp_f32_e32 v4, v4                                       // 000000008EE4: 7E084504
	v_rcp_f32_e32 v5, v5                                       // 000000008EE8: 7E0A4505
	v_rcp_f32_e32 v6, v6                                       // 000000008EEC: 7E0C4506
	v_rcp_f32_e32 v7, v7                                       // 000000008EF0: 7E0E4507
	v_mul_f32_e32 v104, v104, v4                               // 000000008EF4: 0AD00968
	v_mul_f32_e32 v105, v105, v5                               // 000000008EF8: 0AD20B69
	v_mul_f32_e32 v106, v106, v6                               // 000000008EFC: 0AD40D6A
	v_mul_f32_e32 v107, v107, v7                               // 000000008F00: 0AD60F6B
	v_mul_f32_e32 v104, v104, v140                             // 000000008F04: 0AD11968
	v_mul_f32_e32 v105, v105, v141                             // 000000008F08: 0AD31B69
	v_mul_f32_e32 v106, v106, v142                             // 000000008F0C: 0AD51D6A
	v_mul_f32_e32 v107, v107, v143                             // 000000008F10: 0AD71F6B
	v_pk_mul_f32 v[4:5], v[108:109], v[108:109]                // 000000008F14: D3B14004 1802D96C
	v_pk_mul_f32 v[6:7], v[110:111], v[110:111]                // 000000008F1C: D3B14006 1802DD6E
	v_pk_fma_f32 v[4:5], v[4:5], s[78:79], v[8:9]              // 000000008F24: D3B04004 1C209D04
	v_pk_fma_f32 v[6:7], v[6:7], s[78:79], v[8:9]              // 000000008F2C: D3B04006 1C209D06
	v_pk_mul_f32 v[4:5], v[4:5], v[108:109]                    // 000000008F34: D3B14004 1802D904
	v_pk_mul_f32 v[6:7], v[6:7], v[110:111]                    // 000000008F3C: D3B14006 1802DD06
	v_pk_mul_f32 v[4:5], v[4:5], s[60:61]                      // 000000008F44: D3B14004 18007904
	v_pk_mul_f32 v[6:7], v[6:7], s[60:61]                      // 000000008F4C: D3B14006 18007906
	v_exp_f32_e32 v4, v4                                       // 000000008F54: 7E084104
	v_exp_f32_e32 v5, v5                                       // 000000008F58: 7E0A4105
	v_exp_f32_e32 v6, v6                                       // 000000008F5C: 7E0C4106
	v_exp_f32_e32 v7, v7                                       // 000000008F60: 7E0E4107
	v_add_f32_e64 v4, v4, 1.0                                  // 000000008F64: D1010004 0001E504
	v_add_f32_e64 v5, v5, 1.0                                  // 000000008F6C: D1010005 0001E505
	v_add_f32_e64 v6, v6, 1.0                                  // 000000008F74: D1010006 0001E506
	v_add_f32_e64 v7, v7, 1.0                                  // 000000008F7C: D1010007 0001E507
	v_rcp_f32_e32 v4, v4                                       // 000000008F84: 7E084504
	v_rcp_f32_e32 v5, v5                                       // 000000008F88: 7E0A4505
	v_rcp_f32_e32 v6, v6                                       // 000000008F8C: 7E0C4506
	v_rcp_f32_e32 v7, v7                                       // 000000008F90: 7E0E4507
	v_mul_f32_e32 v108, v108, v4                               // 000000008F94: 0AD8096C
	v_mul_f32_e32 v109, v109, v5                               // 000000008F98: 0ADA0B6D
	v_mul_f32_e32 v110, v110, v6                               // 000000008F9C: 0ADC0D6E
	v_mul_f32_e32 v111, v111, v7                               // 000000008FA0: 0ADE0F6F
	v_mul_f32_e32 v108, v108, v144                             // 000000008FA4: 0AD9216C
	v_mul_f32_e32 v109, v109, v145                             // 000000008FA8: 0ADB236D
	v_mul_f32_e32 v110, v110, v146                             // 000000008FAC: 0ADD256E
	v_mul_f32_e32 v111, v111, v147                             // 000000008FB0: 0ADF276F
	v_pk_mul_f32 v[4:5], v[112:113], v[112:113]                // 000000008FB4: D3B14004 1802E170
	v_pk_mul_f32 v[6:7], v[114:115], v[114:115]                // 000000008FBC: D3B14006 1802E572
	v_pk_fma_f32 v[4:5], v[4:5], s[78:79], v[8:9]              // 000000008FC4: D3B04004 1C209D04
	v_pk_fma_f32 v[6:7], v[6:7], s[78:79], v[8:9]              // 000000008FCC: D3B04006 1C209D06
	v_pk_mul_f32 v[4:5], v[4:5], v[112:113]                    // 000000008FD4: D3B14004 1802E104
	v_pk_mul_f32 v[6:7], v[6:7], v[114:115]                    // 000000008FDC: D3B14006 1802E506
	v_pk_mul_f32 v[4:5], v[4:5], s[60:61]                      // 000000008FE4: D3B14004 18007904
	v_pk_mul_f32 v[6:7], v[6:7], s[60:61]                      // 000000008FEC: D3B14006 18007906
	v_exp_f32_e32 v4, v4                                       // 000000008FF4: 7E084104
	v_exp_f32_e32 v5, v5                                       // 000000008FF8: 7E0A4105
	v_exp_f32_e32 v6, v6                                       // 000000008FFC: 7E0C4106
	v_exp_f32_e32 v7, v7                                       // 000000009000: 7E0E4107
	v_add_f32_e64 v4, v4, 1.0                                  // 000000009004: D1010004 0001E504
	v_add_f32_e64 v5, v5, 1.0                                  // 00000000900C: D1010005 0001E505
	v_add_f32_e64 v6, v6, 1.0                                  // 000000009014: D1010006 0001E506
	v_add_f32_e64 v7, v7, 1.0                                  // 00000000901C: D1010007 0001E507
	v_rcp_f32_e32 v4, v4                                       // 000000009024: 7E084504
	v_rcp_f32_e32 v5, v5                                       // 000000009028: 7E0A4505
	v_rcp_f32_e32 v6, v6                                       // 00000000902C: 7E0C4506
	v_rcp_f32_e32 v7, v7                                       // 000000009030: 7E0E4507
	v_mul_f32_e32 v112, v112, v4                               // 000000009034: 0AE00970
	v_mul_f32_e32 v113, v113, v5                               // 000000009038: 0AE20B71
	v_mul_f32_e32 v114, v114, v6                               // 00000000903C: 0AE40D72
	v_mul_f32_e32 v115, v115, v7                               // 000000009040: 0AE60F73
	v_mul_f32_e32 v112, v112, v148                             // 000000009044: 0AE12970
	v_mul_f32_e32 v113, v113, v149                             // 000000009048: 0AE32B71
	v_mul_f32_e32 v114, v114, v150                             // 00000000904C: 0AE52D72
	v_mul_f32_e32 v115, v115, v151                             // 000000009050: 0AE72F73
	v_pk_mul_f32 v[4:5], v[116:117], v[116:117]                // 000000009054: D3B14004 1802E974
	v_pk_mul_f32 v[6:7], v[118:119], v[118:119]                // 00000000905C: D3B14006 1802ED76
	v_pk_fma_f32 v[4:5], v[4:5], s[78:79], v[8:9]              // 000000009064: D3B04004 1C209D04
	v_pk_fma_f32 v[6:7], v[6:7], s[78:79], v[8:9]              // 00000000906C: D3B04006 1C209D06
	v_pk_mul_f32 v[4:5], v[4:5], v[116:117]                    // 000000009074: D3B14004 1802E904
	v_pk_mul_f32 v[6:7], v[6:7], v[118:119]                    // 00000000907C: D3B14006 1802ED06
	v_pk_mul_f32 v[4:5], v[4:5], s[60:61]                      // 000000009084: D3B14004 18007904
	v_pk_mul_f32 v[6:7], v[6:7], s[60:61]                      // 00000000908C: D3B14006 18007906
	v_exp_f32_e32 v4, v4                                       // 000000009094: 7E084104
	v_exp_f32_e32 v5, v5                                       // 000000009098: 7E0A4105
	v_exp_f32_e32 v6, v6                                       // 00000000909C: 7E0C4106
	v_exp_f32_e32 v7, v7                                       // 0000000090A0: 7E0E4107
	v_add_f32_e64 v4, v4, 1.0                                  // 0000000090A4: D1010004 0001E504
	v_add_f32_e64 v5, v5, 1.0                                  // 0000000090AC: D1010005 0001E505
	v_add_f32_e64 v6, v6, 1.0                                  // 0000000090B4: D1010006 0001E506
	v_add_f32_e64 v7, v7, 1.0                                  // 0000000090BC: D1010007 0001E507
	v_rcp_f32_e32 v4, v4                                       // 0000000090C4: 7E084504
	v_rcp_f32_e32 v5, v5                                       // 0000000090C8: 7E0A4505
	v_rcp_f32_e32 v6, v6                                       // 0000000090CC: 7E0C4506
	v_rcp_f32_e32 v7, v7                                       // 0000000090D0: 7E0E4507
	v_mul_f32_e32 v116, v116, v4                               // 0000000090D4: 0AE80974
	v_mul_f32_e32 v117, v117, v5                               // 0000000090D8: 0AEA0B75
	v_mul_f32_e32 v118, v118, v6                               // 0000000090DC: 0AEC0D76
	v_mul_f32_e32 v119, v119, v7                               // 0000000090E0: 0AEE0F77
	v_mul_f32_e32 v116, v116, v152                             // 0000000090E4: 0AE93174
	v_mul_f32_e32 v117, v117, v153                             // 0000000090E8: 0AEB3375
	v_mul_f32_e32 v118, v118, v154                             // 0000000090EC: 0AED3576
	v_mul_f32_e32 v119, v119, v155                             // 0000000090F0: 0AEF3777
	s_branch label_1AE1                                        // 0000000090F4: BF820120

00000000000090f8 <label_19C1>:
	v_mul_f32_e64 v4, -v84, s6                                 // 0000000090F8: D1050004 20000D54
	v_mul_f32_e64 v5, -v85, s6                                 // 000000009100: D1050005 20000D55
	v_mul_f32_e64 v6, -v86, s6                                 // 000000009108: D1050006 20000D56
	v_mul_f32_e64 v7, -v87, s6                                 // 000000009110: D1050007 20000D57
	v_exp_f32_e32 v4, v4                                       // 000000009118: 7E084104
	v_exp_f32_e32 v5, v5                                       // 00000000911C: 7E0A4105
	v_exp_f32_e32 v6, v6                                       // 000000009120: 7E0C4106
	v_exp_f32_e32 v7, v7                                       // 000000009124: 7E0E4107
	v_add_f32_e64 v4, v4, 1.0                                  // 000000009128: D1010004 0001E504
	v_add_f32_e64 v5, v5, 1.0                                  // 000000009130: D1010005 0001E505
	v_add_f32_e64 v6, v6, 1.0                                  // 000000009138: D1010006 0001E506
	v_add_f32_e64 v7, v7, 1.0                                  // 000000009140: D1010007 0001E507
	v_rcp_f32_e32 v4, v4                                       // 000000009148: 7E084504
	v_rcp_f32_e32 v5, v5                                       // 00000000914C: 7E0A4505
	v_rcp_f32_e32 v6, v6                                       // 000000009150: 7E0C4506
	v_rcp_f32_e32 v7, v7                                       // 000000009154: 7E0E4507
	v_mul_f32_e32 v84, v84, v4                                 // 000000009158: 0AA80954
	v_mul_f32_e32 v85, v85, v5                                 // 00000000915C: 0AAA0B55
	v_mul_f32_e32 v86, v86, v6                                 // 000000009160: 0AAC0D56
	v_mul_f32_e32 v87, v87, v7                                 // 000000009164: 0AAE0F57
	v_mul_f32_e32 v84, v84, v120                               // 000000009168: 0AA8F154
	v_mul_f32_e32 v85, v85, v121                               // 00000000916C: 0AAAF355
	v_mul_f32_e32 v86, v86, v122                               // 000000009170: 0AACF556
	v_mul_f32_e32 v87, v87, v123                               // 000000009174: 0AAEF757
	v_mul_f32_e64 v4, -v88, s6                                 // 000000009178: D1050004 20000D58
	v_mul_f32_e64 v5, -v89, s6                                 // 000000009180: D1050005 20000D59
	v_mul_f32_e64 v6, -v90, s6                                 // 000000009188: D1050006 20000D5A
	v_mul_f32_e64 v7, -v91, s6                                 // 000000009190: D1050007 20000D5B
	v_exp_f32_e32 v4, v4                                       // 000000009198: 7E084104
	v_exp_f32_e32 v5, v5                                       // 00000000919C: 7E0A4105
	v_exp_f32_e32 v6, v6                                       // 0000000091A0: 7E0C4106
	v_exp_f32_e32 v7, v7                                       // 0000000091A4: 7E0E4107
	v_add_f32_e64 v4, v4, 1.0                                  // 0000000091A8: D1010004 0001E504
	v_add_f32_e64 v5, v5, 1.0                                  // 0000000091B0: D1010005 0001E505
	v_add_f32_e64 v6, v6, 1.0                                  // 0000000091B8: D1010006 0001E506
	v_add_f32_e64 v7, v7, 1.0                                  // 0000000091C0: D1010007 0001E507
	v_rcp_f32_e32 v4, v4                                       // 0000000091C8: 7E084504
	v_rcp_f32_e32 v5, v5                                       // 0000000091CC: 7E0A4505
	v_rcp_f32_e32 v6, v6                                       // 0000000091D0: 7E0C4506
	v_rcp_f32_e32 v7, v7                                       // 0000000091D4: 7E0E4507
	v_mul_f32_e32 v88, v88, v4                                 // 0000000091D8: 0AB00958
	v_mul_f32_e32 v89, v89, v5                                 // 0000000091DC: 0AB20B59
	v_mul_f32_e32 v90, v90, v6                                 // 0000000091E0: 0AB40D5A
	v_mul_f32_e32 v91, v91, v7                                 // 0000000091E4: 0AB60F5B
	v_mul_f32_e32 v88, v88, v124                               // 0000000091E8: 0AB0F958
	v_mul_f32_e32 v89, v89, v125                               // 0000000091EC: 0AB2FB59
	v_mul_f32_e32 v90, v90, v126                               // 0000000091F0: 0AB4FD5A
	v_mul_f32_e32 v91, v91, v127                               // 0000000091F4: 0AB6FF5B
	v_mul_f32_e64 v4, -v92, s6                                 // 0000000091F8: D1050004 20000D5C
	v_mul_f32_e64 v5, -v93, s6                                 // 000000009200: D1050005 20000D5D
	v_mul_f32_e64 v6, -v94, s6                                 // 000000009208: D1050006 20000D5E
	v_mul_f32_e64 v7, -v95, s6                                 // 000000009210: D1050007 20000D5F
	v_exp_f32_e32 v4, v4                                       // 000000009218: 7E084104
	v_exp_f32_e32 v5, v5                                       // 00000000921C: 7E0A4105
	v_exp_f32_e32 v6, v6                                       // 000000009220: 7E0C4106
	v_exp_f32_e32 v7, v7                                       // 000000009224: 7E0E4107
	v_add_f32_e64 v4, v4, 1.0                                  // 000000009228: D1010004 0001E504
	v_add_f32_e64 v5, v5, 1.0                                  // 000000009230: D1010005 0001E505
	v_add_f32_e64 v6, v6, 1.0                                  // 000000009238: D1010006 0001E506
	v_add_f32_e64 v7, v7, 1.0                                  // 000000009240: D1010007 0001E507
	v_rcp_f32_e32 v4, v4                                       // 000000009248: 7E084504
	v_rcp_f32_e32 v5, v5                                       // 00000000924C: 7E0A4505
	v_rcp_f32_e32 v6, v6                                       // 000000009250: 7E0C4506
	v_rcp_f32_e32 v7, v7                                       // 000000009254: 7E0E4507
	v_mul_f32_e32 v92, v92, v4                                 // 000000009258: 0AB8095C
	v_mul_f32_e32 v93, v93, v5                                 // 00000000925C: 0ABA0B5D
	v_mul_f32_e32 v94, v94, v6                                 // 000000009260: 0ABC0D5E
	v_mul_f32_e32 v95, v95, v7                                 // 000000009264: 0ABE0F5F
	v_mul_f32_e32 v92, v92, v128                               // 000000009268: 0AB9015C
	v_mul_f32_e32 v93, v93, v129                               // 00000000926C: 0ABB035D
	v_mul_f32_e32 v94, v94, v130                               // 000000009270: 0ABD055E
	v_mul_f32_e32 v95, v95, v131                               // 000000009274: 0ABF075F
	v_mul_f32_e64 v4, -v96, s6                                 // 000000009278: D1050004 20000D60
	v_mul_f32_e64 v5, -v97, s6                                 // 000000009280: D1050005 20000D61
	v_mul_f32_e64 v6, -v98, s6                                 // 000000009288: D1050006 20000D62
	v_mul_f32_e64 v7, -v99, s6                                 // 000000009290: D1050007 20000D63
	v_exp_f32_e32 v4, v4                                       // 000000009298: 7E084104
	v_exp_f32_e32 v5, v5                                       // 00000000929C: 7E0A4105
	v_exp_f32_e32 v6, v6                                       // 0000000092A0: 7E0C4106
	v_exp_f32_e32 v7, v7                                       // 0000000092A4: 7E0E4107
	v_add_f32_e64 v4, v4, 1.0                                  // 0000000092A8: D1010004 0001E504
	v_add_f32_e64 v5, v5, 1.0                                  // 0000000092B0: D1010005 0001E505
	v_add_f32_e64 v6, v6, 1.0                                  // 0000000092B8: D1010006 0001E506
	v_add_f32_e64 v7, v7, 1.0                                  // 0000000092C0: D1010007 0001E507
	v_rcp_f32_e32 v4, v4                                       // 0000000092C8: 7E084504
	v_rcp_f32_e32 v5, v5                                       // 0000000092CC: 7E0A4505
	v_rcp_f32_e32 v6, v6                                       // 0000000092D0: 7E0C4506
	v_rcp_f32_e32 v7, v7                                       // 0000000092D4: 7E0E4507
	v_mul_f32_e32 v96, v96, v4                                 // 0000000092D8: 0AC00960
	v_mul_f32_e32 v97, v97, v5                                 // 0000000092DC: 0AC20B61
	v_mul_f32_e32 v98, v98, v6                                 // 0000000092E0: 0AC40D62
	v_mul_f32_e32 v99, v99, v7                                 // 0000000092E4: 0AC60F63
	v_mul_f32_e32 v96, v96, v132                               // 0000000092E8: 0AC10960
	v_mul_f32_e32 v97, v97, v133                               // 0000000092EC: 0AC30B61
	v_mul_f32_e32 v98, v98, v134                               // 0000000092F0: 0AC50D62
	v_mul_f32_e32 v99, v99, v135                               // 0000000092F4: 0AC70F63
	v_mul_f32_e64 v4, -v100, s6                                // 0000000092F8: D1050004 20000D64
	v_mul_f32_e64 v5, -v101, s6                                // 000000009300: D1050005 20000D65
	v_mul_f32_e64 v6, -v102, s6                                // 000000009308: D1050006 20000D66
	v_mul_f32_e64 v7, -v103, s6                                // 000000009310: D1050007 20000D67
	v_exp_f32_e32 v4, v4                                       // 000000009318: 7E084104
	v_exp_f32_e32 v5, v5                                       // 00000000931C: 7E0A4105
	v_exp_f32_e32 v6, v6                                       // 000000009320: 7E0C4106
	v_exp_f32_e32 v7, v7                                       // 000000009324: 7E0E4107
	v_add_f32_e64 v4, v4, 1.0                                  // 000000009328: D1010004 0001E504
	v_add_f32_e64 v5, v5, 1.0                                  // 000000009330: D1010005 0001E505
	v_add_f32_e64 v6, v6, 1.0                                  // 000000009338: D1010006 0001E506
	v_add_f32_e64 v7, v7, 1.0                                  // 000000009340: D1010007 0001E507
	v_rcp_f32_e32 v4, v4                                       // 000000009348: 7E084504
	v_rcp_f32_e32 v5, v5                                       // 00000000934C: 7E0A4505
	v_rcp_f32_e32 v6, v6                                       // 000000009350: 7E0C4506
	v_rcp_f32_e32 v7, v7                                       // 000000009354: 7E0E4507
	v_mul_f32_e32 v100, v100, v4                               // 000000009358: 0AC80964
	v_mul_f32_e32 v101, v101, v5                               // 00000000935C: 0ACA0B65
	v_mul_f32_e32 v102, v102, v6                               // 000000009360: 0ACC0D66
	v_mul_f32_e32 v103, v103, v7                               // 000000009364: 0ACE0F67
	v_mul_f32_e32 v100, v100, v136                             // 000000009368: 0AC91164
	v_mul_f32_e32 v101, v101, v137                             // 00000000936C: 0ACB1365
	v_mul_f32_e32 v102, v102, v138                             // 000000009370: 0ACD1566
	v_mul_f32_e32 v103, v103, v139                             // 000000009374: 0ACF1767
	v_mul_f32_e64 v4, -v104, s6                                // 000000009378: D1050004 20000D68
	v_mul_f32_e64 v5, -v105, s6                                // 000000009380: D1050005 20000D69
	v_mul_f32_e64 v6, -v106, s6                                // 000000009388: D1050006 20000D6A
	v_mul_f32_e64 v7, -v107, s6                                // 000000009390: D1050007 20000D6B
	v_exp_f32_e32 v4, v4                                       // 000000009398: 7E084104
	v_exp_f32_e32 v5, v5                                       // 00000000939C: 7E0A4105
	v_exp_f32_e32 v6, v6                                       // 0000000093A0: 7E0C4106
	v_exp_f32_e32 v7, v7                                       // 0000000093A4: 7E0E4107
	v_add_f32_e64 v4, v4, 1.0                                  // 0000000093A8: D1010004 0001E504
	v_add_f32_e64 v5, v5, 1.0                                  // 0000000093B0: D1010005 0001E505
	v_add_f32_e64 v6, v6, 1.0                                  // 0000000093B8: D1010006 0001E506
	v_add_f32_e64 v7, v7, 1.0                                  // 0000000093C0: D1010007 0001E507
	v_rcp_f32_e32 v4, v4                                       // 0000000093C8: 7E084504
	v_rcp_f32_e32 v5, v5                                       // 0000000093CC: 7E0A4505
	v_rcp_f32_e32 v6, v6                                       // 0000000093D0: 7E0C4506
	v_rcp_f32_e32 v7, v7                                       // 0000000093D4: 7E0E4507
	v_mul_f32_e32 v104, v104, v4                               // 0000000093D8: 0AD00968
	v_mul_f32_e32 v105, v105, v5                               // 0000000093DC: 0AD20B69
	v_mul_f32_e32 v106, v106, v6                               // 0000000093E0: 0AD40D6A
	v_mul_f32_e32 v107, v107, v7                               // 0000000093E4: 0AD60F6B
	v_mul_f32_e32 v104, v104, v140                             // 0000000093E8: 0AD11968
	v_mul_f32_e32 v105, v105, v141                             // 0000000093EC: 0AD31B69
	v_mul_f32_e32 v106, v106, v142                             // 0000000093F0: 0AD51D6A
	v_mul_f32_e32 v107, v107, v143                             // 0000000093F4: 0AD71F6B
	v_mul_f32_e64 v4, -v108, s6                                // 0000000093F8: D1050004 20000D6C
	v_mul_f32_e64 v5, -v109, s6                                // 000000009400: D1050005 20000D6D
	v_mul_f32_e64 v6, -v110, s6                                // 000000009408: D1050006 20000D6E
	v_mul_f32_e64 v7, -v111, s6                                // 000000009410: D1050007 20000D6F
	v_exp_f32_e32 v4, v4                                       // 000000009418: 7E084104
	v_exp_f32_e32 v5, v5                                       // 00000000941C: 7E0A4105
	v_exp_f32_e32 v6, v6                                       // 000000009420: 7E0C4106
	v_exp_f32_e32 v7, v7                                       // 000000009424: 7E0E4107
	v_add_f32_e64 v4, v4, 1.0                                  // 000000009428: D1010004 0001E504
	v_add_f32_e64 v5, v5, 1.0                                  // 000000009430: D1010005 0001E505
	v_add_f32_e64 v6, v6, 1.0                                  // 000000009438: D1010006 0001E506
	v_add_f32_e64 v7, v7, 1.0                                  // 000000009440: D1010007 0001E507
	v_rcp_f32_e32 v4, v4                                       // 000000009448: 7E084504
	v_rcp_f32_e32 v5, v5                                       // 00000000944C: 7E0A4505
	v_rcp_f32_e32 v6, v6                                       // 000000009450: 7E0C4506
	v_rcp_f32_e32 v7, v7                                       // 000000009454: 7E0E4507
	v_mul_f32_e32 v108, v108, v4                               // 000000009458: 0AD8096C
	v_mul_f32_e32 v109, v109, v5                               // 00000000945C: 0ADA0B6D
	v_mul_f32_e32 v110, v110, v6                               // 000000009460: 0ADC0D6E
	v_mul_f32_e32 v111, v111, v7                               // 000000009464: 0ADE0F6F
	v_mul_f32_e32 v108, v108, v144                             // 000000009468: 0AD9216C
	v_mul_f32_e32 v109, v109, v145                             // 00000000946C: 0ADB236D
	v_mul_f32_e32 v110, v110, v146                             // 000000009470: 0ADD256E
	v_mul_f32_e32 v111, v111, v147                             // 000000009474: 0ADF276F
	v_mul_f32_e64 v4, -v112, s6                                // 000000009478: D1050004 20000D70
	v_mul_f32_e64 v5, -v113, s6                                // 000000009480: D1050005 20000D71
	v_mul_f32_e64 v6, -v114, s6                                // 000000009488: D1050006 20000D72
	v_mul_f32_e64 v7, -v115, s6                                // 000000009490: D1050007 20000D73
	v_exp_f32_e32 v4, v4                                       // 000000009498: 7E084104
	v_exp_f32_e32 v5, v5                                       // 00000000949C: 7E0A4105
	v_exp_f32_e32 v6, v6                                       // 0000000094A0: 7E0C4106
	v_exp_f32_e32 v7, v7                                       // 0000000094A4: 7E0E4107
	v_add_f32_e64 v4, v4, 1.0                                  // 0000000094A8: D1010004 0001E504
	v_add_f32_e64 v5, v5, 1.0                                  // 0000000094B0: D1010005 0001E505
	v_add_f32_e64 v6, v6, 1.0                                  // 0000000094B8: D1010006 0001E506
	v_add_f32_e64 v7, v7, 1.0                                  // 0000000094C0: D1010007 0001E507
	v_rcp_f32_e32 v4, v4                                       // 0000000094C8: 7E084504
	v_rcp_f32_e32 v5, v5                                       // 0000000094CC: 7E0A4505
	v_rcp_f32_e32 v6, v6                                       // 0000000094D0: 7E0C4506
	v_rcp_f32_e32 v7, v7                                       // 0000000094D4: 7E0E4507
	v_mul_f32_e32 v112, v112, v4                               // 0000000094D8: 0AE00970
	v_mul_f32_e32 v113, v113, v5                               // 0000000094DC: 0AE20B71
	v_mul_f32_e32 v114, v114, v6                               // 0000000094E0: 0AE40D72
	v_mul_f32_e32 v115, v115, v7                               // 0000000094E4: 0AE60F73
	v_mul_f32_e32 v112, v112, v148                             // 0000000094E8: 0AE12970
	v_mul_f32_e32 v113, v113, v149                             // 0000000094EC: 0AE32B71
	v_mul_f32_e32 v114, v114, v150                             // 0000000094F0: 0AE52D72
	v_mul_f32_e32 v115, v115, v151                             // 0000000094F4: 0AE72F73
	v_mul_f32_e64 v4, -v116, s6                                // 0000000094F8: D1050004 20000D74
	v_mul_f32_e64 v5, -v117, s6                                // 000000009500: D1050005 20000D75
	v_mul_f32_e64 v6, -v118, s6                                // 000000009508: D1050006 20000D76
	v_mul_f32_e64 v7, -v119, s6                                // 000000009510: D1050007 20000D77
	v_exp_f32_e32 v4, v4                                       // 000000009518: 7E084104
	v_exp_f32_e32 v5, v5                                       // 00000000951C: 7E0A4105
	v_exp_f32_e32 v6, v6                                       // 000000009520: 7E0C4106
	v_exp_f32_e32 v7, v7                                       // 000000009524: 7E0E4107
	v_add_f32_e64 v4, v4, 1.0                                  // 000000009528: D1010004 0001E504
	v_add_f32_e64 v5, v5, 1.0                                  // 000000009530: D1010005 0001E505
	v_add_f32_e64 v6, v6, 1.0                                  // 000000009538: D1010006 0001E506
	v_add_f32_e64 v7, v7, 1.0                                  // 000000009540: D1010007 0001E507
	v_rcp_f32_e32 v4, v4                                       // 000000009548: 7E084504
	v_rcp_f32_e32 v5, v5                                       // 00000000954C: 7E0A4505
	v_rcp_f32_e32 v6, v6                                       // 000000009550: 7E0C4506
	v_rcp_f32_e32 v7, v7                                       // 000000009554: 7E0E4507
	v_mul_f32_e32 v116, v116, v4                               // 000000009558: 0AE80974
	v_mul_f32_e32 v117, v117, v5                               // 00000000955C: 0AEA0B75
	v_mul_f32_e32 v118, v118, v6                               // 000000009560: 0AEC0D76
	v_mul_f32_e32 v119, v119, v7                               // 000000009564: 0AEE0F77
	v_mul_f32_e32 v116, v116, v152                             // 000000009568: 0AE93174
	v_mul_f32_e32 v117, v117, v153                             // 00000000956C: 0AEB3375
	v_mul_f32_e32 v118, v118, v154                             // 000000009570: 0AED3576
	v_mul_f32_e32 v119, v119, v155                             // 000000009574: 0AEF3777

0000000000009578 <label_1AE1>:
	v_cmp_u_f32_e64 s[46:47], v84, v84                         // 000000009578: D048002E 0002A954
	v_add3_u32 v16, v84, v19, 1                                // 000000009580: D1FF0010 02062754
	v_cndmask_b32_e64 v4, v16, v18, s[46:47]                   // 000000009588: D1000004 00BA2510
	v_cmp_u_f32_e64 s[46:47], v85, v85                         // 000000009590: D048002E 0002AB55
	v_add3_u32 v16, v85, v19, 1                                // 000000009598: D1FF0010 02062755
	v_cndmask_b32_e64 v5, v16, v18, s[46:47]                   // 0000000095A0: D1000005 00BA2510
	v_perm_b32 v84, v5, v4, s52                                // 0000000095A8: D1ED0054 00D20905
	v_cmp_u_f32_e64 s[46:47], v86, v86                         // 0000000095B0: D048002E 0002AD56
	v_add3_u32 v16, v86, v19, 1                                // 0000000095B8: D1FF0010 02062756
	v_cndmask_b32_e64 v4, v16, v18, s[46:47]                   // 0000000095C0: D1000004 00BA2510
	v_cmp_u_f32_e64 s[46:47], v87, v87                         // 0000000095C8: D048002E 0002AF57
	v_add3_u32 v16, v87, v19, 1                                // 0000000095D0: D1FF0010 02062757
	v_cndmask_b32_e64 v5, v16, v18, s[46:47]                   // 0000000095D8: D1000005 00BA2510
	v_perm_b32 v85, v5, v4, s52                                // 0000000095E0: D1ED0055 00D20905
	v_cmp_u_f32_e64 s[46:47], v88, v88                         // 0000000095E8: D048002E 0002B158
	v_add3_u32 v16, v88, v19, 1                                // 0000000095F0: D1FF0010 02062758
	v_cndmask_b32_e64 v4, v16, v18, s[46:47]                   // 0000000095F8: D1000004 00BA2510
	v_cmp_u_f32_e64 s[46:47], v89, v89                         // 000000009600: D048002E 0002B359
	v_add3_u32 v16, v89, v19, 1                                // 000000009608: D1FF0010 02062759
	v_cndmask_b32_e64 v5, v16, v18, s[46:47]                   // 000000009610: D1000005 00BA2510
	v_perm_b32 v86, v5, v4, s52                                // 000000009618: D1ED0056 00D20905
	v_cmp_u_f32_e64 s[46:47], v90, v90                         // 000000009620: D048002E 0002B55A
	v_add3_u32 v16, v90, v19, 1                                // 000000009628: D1FF0010 0206275A
	v_cndmask_b32_e64 v4, v16, v18, s[46:47]                   // 000000009630: D1000004 00BA2510
	v_cmp_u_f32_e64 s[46:47], v91, v91                         // 000000009638: D048002E 0002B75B
	v_add3_u32 v16, v91, v19, 1                                // 000000009640: D1FF0010 0206275B
	v_cndmask_b32_e64 v5, v16, v18, s[46:47]                   // 000000009648: D1000005 00BA2510
	v_perm_b32 v87, v5, v4, s52                                // 000000009650: D1ED0057 00D20905
	v_cmp_u_f32_e64 s[46:47], v92, v92                         // 000000009658: D048002E 0002B95C
	v_add3_u32 v16, v92, v19, 1                                // 000000009660: D1FF0010 0206275C
	v_cndmask_b32_e64 v4, v16, v18, s[46:47]                   // 000000009668: D1000004 00BA2510
	v_cmp_u_f32_e64 s[46:47], v93, v93                         // 000000009670: D048002E 0002BB5D
	v_add3_u32 v16, v93, v19, 1                                // 000000009678: D1FF0010 0206275D
	v_cndmask_b32_e64 v5, v16, v18, s[46:47]                   // 000000009680: D1000005 00BA2510
	v_perm_b32 v88, v5, v4, s52                                // 000000009688: D1ED0058 00D20905
	v_cmp_u_f32_e64 s[46:47], v94, v94                         // 000000009690: D048002E 0002BD5E
	v_add3_u32 v16, v94, v19, 1                                // 000000009698: D1FF0010 0206275E
	v_cndmask_b32_e64 v4, v16, v18, s[46:47]                   // 0000000096A0: D1000004 00BA2510
	v_cmp_u_f32_e64 s[46:47], v95, v95                         // 0000000096A8: D048002E 0002BF5F
	v_add3_u32 v16, v95, v19, 1                                // 0000000096B0: D1FF0010 0206275F
	v_cndmask_b32_e64 v5, v16, v18, s[46:47]                   // 0000000096B8: D1000005 00BA2510
	v_perm_b32 v89, v5, v4, s52                                // 0000000096C0: D1ED0059 00D20905
	v_cmp_u_f32_e64 s[46:47], v96, v96                         // 0000000096C8: D048002E 0002C160
	v_add3_u32 v16, v96, v19, 1                                // 0000000096D0: D1FF0010 02062760
	v_cndmask_b32_e64 v4, v16, v18, s[46:47]                   // 0000000096D8: D1000004 00BA2510
	v_cmp_u_f32_e64 s[46:47], v97, v97                         // 0000000096E0: D048002E 0002C361
	v_add3_u32 v16, v97, v19, 1                                // 0000000096E8: D1FF0010 02062761
	v_cndmask_b32_e64 v5, v16, v18, s[46:47]                   // 0000000096F0: D1000005 00BA2510
	v_perm_b32 v90, v5, v4, s52                                // 0000000096F8: D1ED005A 00D20905
	v_cmp_u_f32_e64 s[46:47], v98, v98                         // 000000009700: D048002E 0002C562
	v_add3_u32 v16, v98, v19, 1                                // 000000009708: D1FF0010 02062762
	v_cndmask_b32_e64 v4, v16, v18, s[46:47]                   // 000000009710: D1000004 00BA2510
	v_cmp_u_f32_e64 s[46:47], v99, v99                         // 000000009718: D048002E 0002C763
	v_add3_u32 v16, v99, v19, 1                                // 000000009720: D1FF0010 02062763
	v_cndmask_b32_e64 v5, v16, v18, s[46:47]                   // 000000009728: D1000005 00BA2510
	v_perm_b32 v91, v5, v4, s52                                // 000000009730: D1ED005B 00D20905
	v_cmp_u_f32_e64 s[46:47], v100, v100                       // 000000009738: D048002E 0002C964
	v_add3_u32 v16, v100, v19, 1                               // 000000009740: D1FF0010 02062764
	v_cndmask_b32_e64 v4, v16, v18, s[46:47]                   // 000000009748: D1000004 00BA2510
	v_cmp_u_f32_e64 s[46:47], v101, v101                       // 000000009750: D048002E 0002CB65
	v_add3_u32 v16, v101, v19, 1                               // 000000009758: D1FF0010 02062765
	v_cndmask_b32_e64 v5, v16, v18, s[46:47]                   // 000000009760: D1000005 00BA2510
	v_perm_b32 v92, v5, v4, s52                                // 000000009768: D1ED005C 00D20905
	v_cmp_u_f32_e64 s[46:47], v102, v102                       // 000000009770: D048002E 0002CD66
	v_add3_u32 v16, v102, v19, 1                               // 000000009778: D1FF0010 02062766
	v_cndmask_b32_e64 v4, v16, v18, s[46:47]                   // 000000009780: D1000004 00BA2510
	v_cmp_u_f32_e64 s[46:47], v103, v103                       // 000000009788: D048002E 0002CF67
	v_add3_u32 v16, v103, v19, 1                               // 000000009790: D1FF0010 02062767
	v_cndmask_b32_e64 v5, v16, v18, s[46:47]                   // 000000009798: D1000005 00BA2510
	v_perm_b32 v93, v5, v4, s52                                // 0000000097A0: D1ED005D 00D20905
	v_cmp_u_f32_e64 s[46:47], v104, v104                       // 0000000097A8: D048002E 0002D168
	v_add3_u32 v16, v104, v19, 1                               // 0000000097B0: D1FF0010 02062768
	v_cndmask_b32_e64 v4, v16, v18, s[46:47]                   // 0000000097B8: D1000004 00BA2510
	v_cmp_u_f32_e64 s[46:47], v105, v105                       // 0000000097C0: D048002E 0002D369
	v_add3_u32 v16, v105, v19, 1                               // 0000000097C8: D1FF0010 02062769
	v_cndmask_b32_e64 v5, v16, v18, s[46:47]                   // 0000000097D0: D1000005 00BA2510
	v_perm_b32 v94, v5, v4, s52                                // 0000000097D8: D1ED005E 00D20905
	v_cmp_u_f32_e64 s[46:47], v106, v106                       // 0000000097E0: D048002E 0002D56A
	v_add3_u32 v16, v106, v19, 1                               // 0000000097E8: D1FF0010 0206276A
	v_cndmask_b32_e64 v4, v16, v18, s[46:47]                   // 0000000097F0: D1000004 00BA2510
	v_cmp_u_f32_e64 s[46:47], v107, v107                       // 0000000097F8: D048002E 0002D76B
	v_add3_u32 v16, v107, v19, 1                               // 000000009800: D1FF0010 0206276B
	v_cndmask_b32_e64 v5, v16, v18, s[46:47]                   // 000000009808: D1000005 00BA2510
	v_perm_b32 v95, v5, v4, s52                                // 000000009810: D1ED005F 00D20905
	v_cmp_u_f32_e64 s[46:47], v108, v108                       // 000000009818: D048002E 0002D96C
	v_add3_u32 v16, v108, v19, 1                               // 000000009820: D1FF0010 0206276C
	v_cndmask_b32_e64 v4, v16, v18, s[46:47]                   // 000000009828: D1000004 00BA2510
	v_cmp_u_f32_e64 s[46:47], v109, v109                       // 000000009830: D048002E 0002DB6D
	v_add3_u32 v16, v109, v19, 1                               // 000000009838: D1FF0010 0206276D
	v_cndmask_b32_e64 v5, v16, v18, s[46:47]                   // 000000009840: D1000005 00BA2510
	v_perm_b32 v96, v5, v4, s52                                // 000000009848: D1ED0060 00D20905
	v_cmp_u_f32_e64 s[46:47], v110, v110                       // 000000009850: D048002E 0002DD6E
	v_add3_u32 v16, v110, v19, 1                               // 000000009858: D1FF0010 0206276E
	v_cndmask_b32_e64 v4, v16, v18, s[46:47]                   // 000000009860: D1000004 00BA2510
	v_cmp_u_f32_e64 s[46:47], v111, v111                       // 000000009868: D048002E 0002DF6F
	v_add3_u32 v16, v111, v19, 1                               // 000000009870: D1FF0010 0206276F
	v_cndmask_b32_e64 v5, v16, v18, s[46:47]                   // 000000009878: D1000005 00BA2510
	v_perm_b32 v97, v5, v4, s52                                // 000000009880: D1ED0061 00D20905
	v_cmp_u_f32_e64 s[46:47], v112, v112                       // 000000009888: D048002E 0002E170
	v_add3_u32 v16, v112, v19, 1                               // 000000009890: D1FF0010 02062770
	v_cndmask_b32_e64 v4, v16, v18, s[46:47]                   // 000000009898: D1000004 00BA2510
	v_cmp_u_f32_e64 s[46:47], v113, v113                       // 0000000098A0: D048002E 0002E371
	v_add3_u32 v16, v113, v19, 1                               // 0000000098A8: D1FF0010 02062771
	v_cndmask_b32_e64 v5, v16, v18, s[46:47]                   // 0000000098B0: D1000005 00BA2510
	v_perm_b32 v98, v5, v4, s52                                // 0000000098B8: D1ED0062 00D20905
	v_cmp_u_f32_e64 s[46:47], v114, v114                       // 0000000098C0: D048002E 0002E572
	v_add3_u32 v16, v114, v19, 1                               // 0000000098C8: D1FF0010 02062772
	v_cndmask_b32_e64 v4, v16, v18, s[46:47]                   // 0000000098D0: D1000004 00BA2510
	v_cmp_u_f32_e64 s[46:47], v115, v115                       // 0000000098D8: D048002E 0002E773
	v_add3_u32 v16, v115, v19, 1                               // 0000000098E0: D1FF0010 02062773
	v_cndmask_b32_e64 v5, v16, v18, s[46:47]                   // 0000000098E8: D1000005 00BA2510
	v_perm_b32 v99, v5, v4, s52                                // 0000000098F0: D1ED0063 00D20905
	v_cmp_u_f32_e64 s[46:47], v116, v116                       // 0000000098F8: D048002E 0002E974
	v_add3_u32 v16, v116, v19, 1                               // 000000009900: D1FF0010 02062774
	v_cndmask_b32_e64 v4, v16, v18, s[46:47]                   // 000000009908: D1000004 00BA2510
	v_cmp_u_f32_e64 s[46:47], v117, v117                       // 000000009910: D048002E 0002EB75
	v_add3_u32 v16, v117, v19, 1                               // 000000009918: D1FF0010 02062775
	v_cndmask_b32_e64 v5, v16, v18, s[46:47]                   // 000000009920: D1000005 00BA2510
	v_perm_b32 v100, v5, v4, s52                               // 000000009928: D1ED0064 00D20905
	v_cmp_u_f32_e64 s[46:47], v118, v118                       // 000000009930: D048002E 0002ED76
	v_add3_u32 v16, v118, v19, 1                               // 000000009938: D1FF0010 02062776
	v_cndmask_b32_e64 v4, v16, v18, s[46:47]                   // 000000009940: D1000004 00BA2510
	v_cmp_u_f32_e64 s[46:47], v119, v119                       // 000000009948: D048002E 0002EF77
	v_add3_u32 v16, v119, v19, 1                               // 000000009950: D1FF0010 02062777
	v_cndmask_b32_e64 v5, v16, v18, s[46:47]                   // 000000009958: D1000005 00BA2510
	v_perm_b32 v101, v5, v4, s52                               // 000000009960: D1ED0065 00D20905
	ds_write_b64 v20, v[84:85]                                 // 000000009968: D89A0000 00005414
	ds_write_b64 v20, v[86:87] offset:2176                     // 000000009970: D89A0880 00005614
	ds_write_b64 v20, v[88:89] offset:4352                     // 000000009978: D89A1100 00005814
	ds_write_b64 v20, v[90:91] offset:6528                     // 000000009980: D89A1980 00005A14
	ds_write_b64 v20, v[92:93] offset:8704                     // 000000009988: D89A2200 00005C14
	ds_write_b64 v20, v[94:95] offset:10880                    // 000000009990: D89A2A80 00005E14
	ds_write_b64 v20, v[96:97] offset:13056                    // 000000009998: D89A3300 00006014
	ds_write_b64 v20, v[98:99] offset:15232                    // 0000000099A0: D89A3B80 00006214
	ds_write_b64 v20, v[100:101] offset:17408                  // 0000000099A8: D89A4400 00006414
	v_lshrrev_b32_e32 v4, 5, v0                                // 0000000099B0: 20080085
	v_xor_b32_e32 v5, 1, v4                                    // 0000000099B4: 2A0A0881
	s_mul_i32 s60, s65, 2                                      // 0000000099B8: 923C8241
	s_cmp_eq_u32 s88, 0                                        // 0000000099BC: BF068058
	s_cselect_b32 s61, 1, 4                                    // 0000000099C0: 853D8481
	s_mul_i32 s60, s61, s60                                    // 0000000099C4: 923C3C3D
	v_readlane_b32 s82, v3, 0                                  // 0000000099C8: D2890052 00010103
	s_lshr_b32 s61, s82, 24                                    // 0000000099D0: 8F3D9852
	s_and_b32 s82, s82, 0xffffff                               // 0000000099D4: 8652FF52 00FFFFFF
	s_mul_i32 s82, s82, s71                                    // 0000000099DC: 92524752
	s_mul_i32 s61, s60, s61                                    // 0000000099E0: 923D3D3C
	s_add_u32 s82, s82, s61                                    // 0000000099E4: 80523D52
	v_mul_lo_u32 v6, v5, s82                                   // 0000000099E8: D2850006 0000A505
	v_readlane_b32 s82, v3, 1                                  // 0000000099F0: D2890052 00010303
	s_lshr_b32 s61, s82, 24                                    // 0000000099F8: 8F3D9852
	s_and_b32 s82, s82, 0xffffff                               // 0000000099FC: 8652FF52 00FFFFFF
	s_mul_i32 s82, s82, s71                                    // 000000009A04: 92524752
	s_mul_i32 s61, s60, s61                                    // 000000009A08: 923D3D3C
	s_add_u32 s82, s82, s61                                    // 000000009A0C: 80523D52
	v_mul_lo_u32 v7, v4, s82                                   // 000000009A10: D2850007 0000A504
	v_add_u32_e32 v64, v6, v7                                  // 000000009A18: 68800F06
	v_readlane_b32 s82, v3, 2                                  // 000000009A1C: D2890052 00010503
	s_lshr_b32 s61, s82, 24                                    // 000000009A24: 8F3D9852
	s_and_b32 s82, s82, 0xffffff                               // 000000009A28: 8652FF52 00FFFFFF
	s_mul_i32 s82, s82, s71                                    // 000000009A30: 92524752
	s_mul_i32 s61, s60, s61                                    // 000000009A34: 923D3D3C
	s_add_u32 s82, s82, s61                                    // 000000009A38: 80523D52
	v_mul_lo_u32 v6, v5, s82                                   // 000000009A3C: D2850006 0000A505
	v_readlane_b32 s82, v3, 3                                  // 000000009A44: D2890052 00010703
	s_lshr_b32 s61, s82, 24                                    // 000000009A4C: 8F3D9852
	s_and_b32 s82, s82, 0xffffff                               // 000000009A50: 8652FF52 00FFFFFF
	s_mul_i32 s82, s82, s71                                    // 000000009A58: 92524752
	s_mul_i32 s61, s60, s61                                    // 000000009A5C: 923D3D3C
	s_add_u32 s82, s82, s61                                    // 000000009A60: 80523D52
	v_mul_lo_u32 v7, v4, s82                                   // 000000009A64: D2850007 0000A504
	v_add_u32_e32 v65, v6, v7                                  // 000000009A6C: 68820F06
	v_readlane_b32 s82, v3, 4                                  // 000000009A70: D2890052 00010903
	s_lshr_b32 s61, s82, 24                                    // 000000009A78: 8F3D9852
	s_and_b32 s82, s82, 0xffffff                               // 000000009A7C: 8652FF52 00FFFFFF
	s_mul_i32 s82, s82, s71                                    // 000000009A84: 92524752
	s_mul_i32 s61, s60, s61                                    // 000000009A88: 923D3D3C
	s_add_u32 s82, s82, s61                                    // 000000009A8C: 80523D52
	v_mul_lo_u32 v6, v5, s82                                   // 000000009A90: D2850006 0000A505
	v_readlane_b32 s82, v3, 5                                  // 000000009A98: D2890052 00010B03
	s_lshr_b32 s61, s82, 24                                    // 000000009AA0: 8F3D9852
	s_and_b32 s82, s82, 0xffffff                               // 000000009AA4: 8652FF52 00FFFFFF
	s_mul_i32 s82, s82, s71                                    // 000000009AAC: 92524752
	s_mul_i32 s61, s60, s61                                    // 000000009AB0: 923D3D3C
	s_add_u32 s82, s82, s61                                    // 000000009AB4: 80523D52
	v_mul_lo_u32 v7, v4, s82                                   // 000000009AB8: D2850007 0000A504
	v_add_u32_e32 v66, v6, v7                                  // 000000009AC0: 68840F06
	v_readlane_b32 s82, v3, 6                                  // 000000009AC4: D2890052 00010D03
	s_lshr_b32 s61, s82, 24                                    // 000000009ACC: 8F3D9852
	s_and_b32 s82, s82, 0xffffff                               // 000000009AD0: 8652FF52 00FFFFFF
	s_mul_i32 s82, s82, s71                                    // 000000009AD8: 92524752
	s_mul_i32 s61, s60, s61                                    // 000000009ADC: 923D3D3C
	s_add_u32 s82, s82, s61                                    // 000000009AE0: 80523D52
	v_mul_lo_u32 v6, v5, s82                                   // 000000009AE4: D2850006 0000A505
	v_readlane_b32 s82, v3, 7                                  // 000000009AEC: D2890052 00010F03
	s_lshr_b32 s61, s82, 24                                    // 000000009AF4: 8F3D9852
	s_and_b32 s82, s82, 0xffffff                               // 000000009AF8: 8652FF52 00FFFFFF
	s_mul_i32 s82, s82, s71                                    // 000000009B00: 92524752
	s_mul_i32 s61, s60, s61                                    // 000000009B04: 923D3D3C
	s_add_u32 s82, s82, s61                                    // 000000009B08: 80523D52
	v_mul_lo_u32 v7, v4, s82                                   // 000000009B0C: D2850007 0000A504
	v_add_u32_e32 v67, v6, v7                                  // 000000009B14: 68860F06
	v_readlane_b32 s82, v3, 8                                  // 000000009B18: D2890052 00011103
	s_lshr_b32 s61, s82, 24                                    // 000000009B20: 8F3D9852
	s_and_b32 s82, s82, 0xffffff                               // 000000009B24: 8652FF52 00FFFFFF
	s_mul_i32 s82, s82, s71                                    // 000000009B2C: 92524752
	s_mul_i32 s61, s60, s61                                    // 000000009B30: 923D3D3C
	s_add_u32 s82, s82, s61                                    // 000000009B34: 80523D52
	v_mul_lo_u32 v6, v5, s82                                   // 000000009B38: D2850006 0000A505
	v_readlane_b32 s82, v3, 9                                  // 000000009B40: D2890052 00011303
	s_lshr_b32 s61, s82, 24                                    // 000000009B48: 8F3D9852
	s_and_b32 s82, s82, 0xffffff                               // 000000009B4C: 8652FF52 00FFFFFF
	s_mul_i32 s82, s82, s71                                    // 000000009B54: 92524752
	s_mul_i32 s61, s60, s61                                    // 000000009B58: 923D3D3C
	s_add_u32 s82, s82, s61                                    // 000000009B5C: 80523D52
	v_mul_lo_u32 v7, v4, s82                                   // 000000009B60: D2850007 0000A504
	v_add_u32_e32 v68, v6, v7                                  // 000000009B68: 68880F06
	v_readlane_b32 s82, v3, 10                                 // 000000009B6C: D2890052 00011503
	s_lshr_b32 s61, s82, 24                                    // 000000009B74: 8F3D9852
	s_and_b32 s82, s82, 0xffffff                               // 000000009B78: 8652FF52 00FFFFFF
	s_mul_i32 s82, s82, s71                                    // 000000009B80: 92524752
	s_mul_i32 s61, s60, s61                                    // 000000009B84: 923D3D3C
	s_add_u32 s82, s82, s61                                    // 000000009B88: 80523D52
	v_mul_lo_u32 v6, v5, s82                                   // 000000009B8C: D2850006 0000A505
	v_readlane_b32 s82, v3, 11                                 // 000000009B94: D2890052 00011703
	s_lshr_b32 s61, s82, 24                                    // 000000009B9C: 8F3D9852
	s_and_b32 s82, s82, 0xffffff                               // 000000009BA0: 8652FF52 00FFFFFF
	s_mul_i32 s82, s82, s71                                    // 000000009BA8: 92524752
	s_mul_i32 s61, s60, s61                                    // 000000009BAC: 923D3D3C
	s_add_u32 s82, s82, s61                                    // 000000009BB0: 80523D52
	v_mul_lo_u32 v7, v4, s82                                   // 000000009BB4: D2850007 0000A504
	v_add_u32_e32 v69, v6, v7                                  // 000000009BBC: 688A0F06
	v_readlane_b32 s82, v3, 12                                 // 000000009BC0: D2890052 00011903
	s_lshr_b32 s61, s82, 24                                    // 000000009BC8: 8F3D9852
	s_and_b32 s82, s82, 0xffffff                               // 000000009BCC: 8652FF52 00FFFFFF
	s_mul_i32 s82, s82, s71                                    // 000000009BD4: 92524752
	s_mul_i32 s61, s60, s61                                    // 000000009BD8: 923D3D3C
	s_add_u32 s82, s82, s61                                    // 000000009BDC: 80523D52
	v_mul_lo_u32 v6, v5, s82                                   // 000000009BE0: D2850006 0000A505
	v_readlane_b32 s82, v3, 13                                 // 000000009BE8: D2890052 00011B03
	s_lshr_b32 s61, s82, 24                                    // 000000009BF0: 8F3D9852
	s_and_b32 s82, s82, 0xffffff                               // 000000009BF4: 8652FF52 00FFFFFF
	s_mul_i32 s82, s82, s71                                    // 000000009BFC: 92524752
	s_mul_i32 s61, s60, s61                                    // 000000009C00: 923D3D3C
	s_add_u32 s82, s82, s61                                    // 000000009C04: 80523D52
	v_mul_lo_u32 v7, v4, s82                                   // 000000009C08: D2850007 0000A504
	v_add_u32_e32 v70, v6, v7                                  // 000000009C10: 688C0F06
	v_readlane_b32 s82, v3, 14                                 // 000000009C14: D2890052 00011D03
	s_lshr_b32 s61, s82, 24                                    // 000000009C1C: 8F3D9852
	s_and_b32 s82, s82, 0xffffff                               // 000000009C20: 8652FF52 00FFFFFF
	s_mul_i32 s82, s82, s71                                    // 000000009C28: 92524752
	s_mul_i32 s61, s60, s61                                    // 000000009C2C: 923D3D3C
	s_add_u32 s82, s82, s61                                    // 000000009C30: 80523D52
	v_mul_lo_u32 v6, v5, s82                                   // 000000009C34: D2850006 0000A505
	v_readlane_b32 s82, v3, 15                                 // 000000009C3C: D2890052 00011F03
	s_lshr_b32 s61, s82, 24                                    // 000000009C44: 8F3D9852
	s_and_b32 s82, s82, 0xffffff                               // 000000009C48: 8652FF52 00FFFFFF
	s_mul_i32 s82, s82, s71                                    // 000000009C50: 92524752
	s_mul_i32 s61, s60, s61                                    // 000000009C54: 923D3D3C
	s_add_u32 s82, s82, s61                                    // 000000009C58: 80523D52
	v_mul_lo_u32 v7, v4, s82                                   // 000000009C5C: D2850007 0000A504
	v_add_u32_e32 v71, v6, v7                                  // 000000009C64: 688E0F06
	v_readlane_b32 s82, v3, 16                                 // 000000009C68: D2890052 00012103
	s_lshr_b32 s61, s82, 24                                    // 000000009C70: 8F3D9852
	s_and_b32 s82, s82, 0xffffff                               // 000000009C74: 8652FF52 00FFFFFF
	s_mul_i32 s82, s82, s71                                    // 000000009C7C: 92524752
	s_mul_i32 s61, s60, s61                                    // 000000009C80: 923D3D3C
	s_add_u32 s82, s82, s61                                    // 000000009C84: 80523D52
	v_mul_lo_u32 v6, v5, s82                                   // 000000009C88: D2850006 0000A505
	v_readlane_b32 s82, v3, 17                                 // 000000009C90: D2890052 00012303
	s_lshr_b32 s61, s82, 24                                    // 000000009C98: 8F3D9852
	s_and_b32 s82, s82, 0xffffff                               // 000000009C9C: 8652FF52 00FFFFFF
	s_mul_i32 s82, s82, s71                                    // 000000009CA4: 92524752
	s_mul_i32 s61, s60, s61                                    // 000000009CA8: 923D3D3C
	s_add_u32 s82, s82, s61                                    // 000000009CAC: 80523D52
	v_mul_lo_u32 v7, v4, s82                                   // 000000009CB0: D2850007 0000A504
	v_add_u32_e32 v72, v6, v7                                  // 000000009CB8: 68900F06
	v_readlane_b32 s82, v3, 18                                 // 000000009CBC: D2890052 00012503
	s_lshr_b32 s61, s82, 24                                    // 000000009CC4: 8F3D9852
	s_and_b32 s82, s82, 0xffffff                               // 000000009CC8: 8652FF52 00FFFFFF
	s_mul_i32 s82, s82, s71                                    // 000000009CD0: 92524752
	s_mul_i32 s61, s60, s61                                    // 000000009CD4: 923D3D3C
	s_add_u32 s82, s82, s61                                    // 000000009CD8: 80523D52
	v_mul_lo_u32 v6, v5, s82                                   // 000000009CDC: D2850006 0000A505
	v_readlane_b32 s82, v3, 19                                 // 000000009CE4: D2890052 00012703
	s_lshr_b32 s61, s82, 24                                    // 000000009CEC: 8F3D9852
	s_and_b32 s82, s82, 0xffffff                               // 000000009CF0: 8652FF52 00FFFFFF
	s_mul_i32 s82, s82, s71                                    // 000000009CF8: 92524752
	s_mul_i32 s61, s60, s61                                    // 000000009CFC: 923D3D3C
	s_add_u32 s82, s82, s61                                    // 000000009D00: 80523D52
	v_mul_lo_u32 v7, v4, s82                                   // 000000009D04: D2850007 0000A504
	v_add_u32_e32 v73, v6, v7                                  // 000000009D0C: 68920F06
	v_readlane_b32 s82, v3, 20                                 // 000000009D10: D2890052 00012903
	s_lshr_b32 s61, s82, 24                                    // 000000009D18: 8F3D9852
	s_and_b32 s82, s82, 0xffffff                               // 000000009D1C: 8652FF52 00FFFFFF
	s_mul_i32 s82, s82, s71                                    // 000000009D24: 92524752
	s_mul_i32 s61, s60, s61                                    // 000000009D28: 923D3D3C
	s_add_u32 s82, s82, s61                                    // 000000009D2C: 80523D52
	v_mul_lo_u32 v6, v5, s82                                   // 000000009D30: D2850006 0000A505
	v_readlane_b32 s82, v3, 21                                 // 000000009D38: D2890052 00012B03
	s_lshr_b32 s61, s82, 24                                    // 000000009D40: 8F3D9852
	s_and_b32 s82, s82, 0xffffff                               // 000000009D44: 8652FF52 00FFFFFF
	s_mul_i32 s82, s82, s71                                    // 000000009D4C: 92524752
	s_mul_i32 s61, s60, s61                                    // 000000009D50: 923D3D3C
	s_add_u32 s82, s82, s61                                    // 000000009D54: 80523D52
	v_mul_lo_u32 v7, v4, s82                                   // 000000009D58: D2850007 0000A504
	v_add_u32_e32 v74, v6, v7                                  // 000000009D60: 68940F06
	v_readlane_b32 s82, v3, 22                                 // 000000009D64: D2890052 00012D03
	s_lshr_b32 s61, s82, 24                                    // 000000009D6C: 8F3D9852
	s_and_b32 s82, s82, 0xffffff                               // 000000009D70: 8652FF52 00FFFFFF
	s_mul_i32 s82, s82, s71                                    // 000000009D78: 92524752
	s_mul_i32 s61, s60, s61                                    // 000000009D7C: 923D3D3C
	s_add_u32 s82, s82, s61                                    // 000000009D80: 80523D52
	v_mul_lo_u32 v6, v5, s82                                   // 000000009D84: D2850006 0000A505
	v_readlane_b32 s82, v3, 23                                 // 000000009D8C: D2890052 00012F03
	s_lshr_b32 s61, s82, 24                                    // 000000009D94: 8F3D9852
	s_and_b32 s82, s82, 0xffffff                               // 000000009D98: 8652FF52 00FFFFFF
	s_mul_i32 s82, s82, s71                                    // 000000009DA0: 92524752
	s_mul_i32 s61, s60, s61                                    // 000000009DA4: 923D3D3C
	s_add_u32 s82, s82, s61                                    // 000000009DA8: 80523D52
	v_mul_lo_u32 v7, v4, s82                                   // 000000009DAC: D2850007 0000A504
	v_add_u32_e32 v75, v6, v7                                  // 000000009DB4: 68960F06
	v_readlane_b32 s82, v3, 24                                 // 000000009DB8: D2890052 00013103
	s_lshr_b32 s61, s82, 24                                    // 000000009DC0: 8F3D9852
	s_and_b32 s82, s82, 0xffffff                               // 000000009DC4: 8652FF52 00FFFFFF
	s_mul_i32 s82, s82, s71                                    // 000000009DCC: 92524752
	s_mul_i32 s61, s60, s61                                    // 000000009DD0: 923D3D3C
	s_add_u32 s82, s82, s61                                    // 000000009DD4: 80523D52
	v_mul_lo_u32 v6, v5, s82                                   // 000000009DD8: D2850006 0000A505
	v_readlane_b32 s82, v3, 25                                 // 000000009DE0: D2890052 00013303
	s_lshr_b32 s61, s82, 24                                    // 000000009DE8: 8F3D9852
	s_and_b32 s82, s82, 0xffffff                               // 000000009DEC: 8652FF52 00FFFFFF
	s_mul_i32 s82, s82, s71                                    // 000000009DF4: 92524752
	s_mul_i32 s61, s60, s61                                    // 000000009DF8: 923D3D3C
	s_add_u32 s82, s82, s61                                    // 000000009DFC: 80523D52
	v_mul_lo_u32 v7, v4, s82                                   // 000000009E00: D2850007 0000A504
	v_add_u32_e32 v76, v6, v7                                  // 000000009E08: 68980F06
	v_readlane_b32 s82, v3, 26                                 // 000000009E0C: D2890052 00013503
	s_lshr_b32 s61, s82, 24                                    // 000000009E14: 8F3D9852
	s_and_b32 s82, s82, 0xffffff                               // 000000009E18: 8652FF52 00FFFFFF
	s_mul_i32 s82, s82, s71                                    // 000000009E20: 92524752
	s_mul_i32 s61, s60, s61                                    // 000000009E24: 923D3D3C
	s_add_u32 s82, s82, s61                                    // 000000009E28: 80523D52
	v_mul_lo_u32 v6, v5, s82                                   // 000000009E2C: D2850006 0000A505
	v_readlane_b32 s82, v3, 27                                 // 000000009E34: D2890052 00013703
	s_lshr_b32 s61, s82, 24                                    // 000000009E3C: 8F3D9852
	s_and_b32 s82, s82, 0xffffff                               // 000000009E40: 8652FF52 00FFFFFF
	s_mul_i32 s82, s82, s71                                    // 000000009E48: 92524752
	s_mul_i32 s61, s60, s61                                    // 000000009E4C: 923D3D3C
	s_add_u32 s82, s82, s61                                    // 000000009E50: 80523D52
	v_mul_lo_u32 v7, v4, s82                                   // 000000009E54: D2850007 0000A504
	v_add_u32_e32 v77, v6, v7                                  // 000000009E5C: 689A0F06
	v_readlane_b32 s82, v3, 28                                 // 000000009E60: D2890052 00013903
	s_lshr_b32 s61, s82, 24                                    // 000000009E68: 8F3D9852
	s_and_b32 s82, s82, 0xffffff                               // 000000009E6C: 8652FF52 00FFFFFF
	s_mul_i32 s82, s82, s71                                    // 000000009E74: 92524752
	s_mul_i32 s61, s60, s61                                    // 000000009E78: 923D3D3C
	s_add_u32 s82, s82, s61                                    // 000000009E7C: 80523D52
	v_mul_lo_u32 v6, v5, s82                                   // 000000009E80: D2850006 0000A505
	v_readlane_b32 s82, v3, 29                                 // 000000009E88: D2890052 00013B03
	s_lshr_b32 s61, s82, 24                                    // 000000009E90: 8F3D9852
	s_and_b32 s82, s82, 0xffffff                               // 000000009E94: 8652FF52 00FFFFFF
	s_mul_i32 s82, s82, s71                                    // 000000009E9C: 92524752
	s_mul_i32 s61, s60, s61                                    // 000000009EA0: 923D3D3C
	s_add_u32 s82, s82, s61                                    // 000000009EA4: 80523D52
	v_mul_lo_u32 v7, v4, s82                                   // 000000009EA8: D2850007 0000A504
	v_add_u32_e32 v78, v6, v7                                  // 000000009EB0: 689C0F06
	v_readlane_b32 s82, v3, 30                                 // 000000009EB4: D2890052 00013D03
	s_lshr_b32 s61, s82, 24                                    // 000000009EBC: 8F3D9852
	s_and_b32 s82, s82, 0xffffff                               // 000000009EC0: 8652FF52 00FFFFFF
	s_mul_i32 s82, s82, s71                                    // 000000009EC8: 92524752
	s_mul_i32 s61, s60, s61                                    // 000000009ECC: 923D3D3C
	s_add_u32 s82, s82, s61                                    // 000000009ED0: 80523D52
	v_mul_lo_u32 v6, v5, s82                                   // 000000009ED4: D2850006 0000A505
	v_readlane_b32 s82, v3, 31                                 // 000000009EDC: D2890052 00013F03
	s_lshr_b32 s61, s82, 24                                    // 000000009EE4: 8F3D9852
	s_and_b32 s82, s82, 0xffffff                               // 000000009EE8: 8652FF52 00FFFFFF
	s_mul_i32 s82, s82, s71                                    // 000000009EF0: 92524752
	s_mul_i32 s61, s60, s61                                    // 000000009EF4: 923D3D3C
	s_add_u32 s82, s82, s61                                    // 000000009EF8: 80523D52
	v_mul_lo_u32 v7, v4, s82                                   // 000000009EFC: D2850007 0000A504
	v_add_u32_e32 v79, v6, v7                                  // 000000009F04: 689E0F06
	v_readlane_b32 s82, v3, 32                                 // 000000009F08: D2890052 00014103
	s_lshr_b32 s61, s82, 24                                    // 000000009F10: 8F3D9852
	s_and_b32 s82, s82, 0xffffff                               // 000000009F14: 8652FF52 00FFFFFF
	s_mul_i32 s82, s82, s71                                    // 000000009F1C: 92524752
	s_mul_i32 s61, s60, s61                                    // 000000009F20: 923D3D3C
	s_add_u32 s82, s82, s61                                    // 000000009F24: 80523D52
	v_mul_lo_u32 v6, v5, s82                                   // 000000009F28: D2850006 0000A505
	v_readlane_b32 s82, v3, 33                                 // 000000009F30: D2890052 00014303
	s_lshr_b32 s61, s82, 24                                    // 000000009F38: 8F3D9852
	s_and_b32 s82, s82, 0xffffff                               // 000000009F3C: 8652FF52 00FFFFFF
	s_mul_i32 s82, s82, s71                                    // 000000009F44: 92524752
	s_mul_i32 s61, s60, s61                                    // 000000009F48: 923D3D3C
	s_add_u32 s82, s82, s61                                    // 000000009F4C: 80523D52
	v_mul_lo_u32 v7, v4, s82                                   // 000000009F50: D2850007 0000A504
	v_add_u32_e32 v80, v6, v7                                  // 000000009F58: 68A00F06
	v_readlane_b32 s82, v3, 34                                 // 000000009F5C: D2890052 00014503
	s_lshr_b32 s61, s82, 24                                    // 000000009F64: 8F3D9852
	s_and_b32 s82, s82, 0xffffff                               // 000000009F68: 8652FF52 00FFFFFF
	s_mul_i32 s82, s82, s71                                    // 000000009F70: 92524752
	s_mul_i32 s61, s60, s61                                    // 000000009F74: 923D3D3C
	s_add_u32 s82, s82, s61                                    // 000000009F78: 80523D52
	v_mul_lo_u32 v6, v5, s82                                   // 000000009F7C: D2850006 0000A505
	v_readlane_b32 s82, v3, 35                                 // 000000009F84: D2890052 00014703
	s_lshr_b32 s61, s82, 24                                    // 000000009F8C: 8F3D9852
	s_and_b32 s82, s82, 0xffffff                               // 000000009F90: 8652FF52 00FFFFFF
	s_mul_i32 s82, s82, s71                                    // 000000009F98: 92524752
	s_mul_i32 s61, s60, s61                                    // 000000009F9C: 923D3D3C
	s_add_u32 s82, s82, s61                                    // 000000009FA0: 80523D52
	v_mul_lo_u32 v7, v4, s82                                   // 000000009FA4: D2850007 0000A504
	v_add_u32_e32 v81, v6, v7                                  // 000000009FAC: 68A20F06
	v_and_b32_e32 v4, 31, v0                                   // 000000009FB0: 2608009F
	v_lshrrev_b32_e32 v4, 1, v4                                // 000000009FB4: 20080881
	s_cmp_eq_u32 s88, 0                                        // 000000009FB8: BF068058
	s_cselect_b32 s61, 2, 4                                    // 000000009FBC: 853D8482
	v_mul_lo_u32 v4, v4, s61                                   // 000000009FC0: D2850004 00007B04
	v_and_b32_e64 v5, v0, 1                                    // 000000009FC8: D1130005 00010300
	v_add_u32_e32 v4, v4, v5                                   // 000000009FD0: 68080B04
	v_lshlrev_b32_e32 v4, 2, v4                                // 000000009FD4: 24080882
	v_add_u32_e32 v64, v64, v4                                 // 000000009FD8: 68800940
	v_add_u32_e32 v65, v65, v4                                 // 000000009FDC: 68820941
	v_add_u32_e32 v66, v66, v4                                 // 000000009FE0: 68840942
	v_add_u32_e32 v67, v67, v4                                 // 000000009FE4: 68860943
	v_add_u32_e32 v68, v68, v4                                 // 000000009FE8: 68880944
	v_add_u32_e32 v69, v69, v4                                 // 000000009FEC: 688A0945
	v_add_u32_e32 v70, v70, v4                                 // 000000009FF0: 688C0946
	v_add_u32_e32 v71, v71, v4                                 // 000000009FF4: 688E0947
	v_add_u32_e32 v72, v72, v4                                 // 000000009FF8: 68900948
	v_add_u32_e32 v73, v73, v4                                 // 000000009FFC: 68920949
	v_add_u32_e32 v74, v74, v4                                 // 00000000A000: 6894094A
	v_add_u32_e32 v75, v75, v4                                 // 00000000A004: 6896094B
	v_add_u32_e32 v76, v76, v4                                 // 00000000A008: 6898094C
	v_add_u32_e32 v77, v77, v4                                 // 00000000A00C: 689A094D
	v_add_u32_e32 v78, v78, v4                                 // 00000000A010: 689C094E
	v_add_u32_e32 v79, v79, v4                                 // 00000000A014: 689E094F
	v_add_u32_e32 v80, v80, v4                                 // 00000000A018: 68A00950
	v_add_u32_e32 v81, v81, v4                                 // 00000000A01C: 68A20951
	s_waitcnt lgkmcnt(0)                                       // 00000000A020: BF8CC07F
	s_barrier                                                  // 00000000A024: BF8A0000
	ds_read_b32 v84, v21                                       // 00000000A028: D86C0000 54000015
	ds_read_b32 v85, v21 offset:64                             // 00000000A030: D86C0040 55000015
	ds_read_b32 v86, v21 offset:2176                           // 00000000A038: D86C0880 56000015
	ds_read_b32 v87, v21 offset:2240                           // 00000000A040: D86C08C0 57000015
	ds_read_b32 v88, v21 offset:4352                           // 00000000A048: D86C1100 58000015
	ds_read_b32 v89, v21 offset:4416                           // 00000000A050: D86C1140 59000015
	ds_read_b32 v90, v21 offset:6528                           // 00000000A058: D86C1980 5A000015
	ds_read_b32 v91, v21 offset:6592                           // 00000000A060: D86C19C0 5B000015
	ds_read_b32 v92, v21 offset:8704                           // 00000000A068: D86C2200 5C000015
	ds_read_b32 v93, v21 offset:8768                           // 00000000A070: D86C2240 5D000015
	ds_read_b32 v94, v21 offset:10880                          // 00000000A078: D86C2A80 5E000015
	ds_read_b32 v95, v21 offset:10944                          // 00000000A080: D86C2AC0 5F000015
	ds_read_b32 v96, v21 offset:13056                          // 00000000A088: D86C3300 60000015
	ds_read_b32 v97, v21 offset:13120                          // 00000000A090: D86C3340 61000015
	ds_read_b32 v98, v21 offset:15232                          // 00000000A098: D86C3B80 62000015
	ds_read_b32 v99, v21 offset:15296                          // 00000000A0A0: D86C3BC0 63000015
	ds_read_b32 v100, v21 offset:17408                         // 00000000A0A8: D86C4400 64000015
	ds_read_b32 v101, v21 offset:17472                         // 00000000A0B0: D86C4440 65000015
	s_waitcnt lgkmcnt(0)                                       // 00000000A0B8: BF8CC07F
	s_mov_b32 s36, -1                                          // 00000000A0BC: BEA400C1
	s_mov_b32 s37, -1                                          // 00000000A0C0: BEA500C1
	v_mov_b32_e32 v7, 0                                        // 00000000A0C4: 7E0E0280
	s_or_b32 s9, s9, 0x40000                                   // 00000000A0C8: 8709FF09 00040000
	s_mov_b64 exec, s[36:37]                                   // 00000000A0D0: BEFE0124
	v_mov_b32_e32 v6, v64                                      // 00000000A0D4: 7E0C0340
	s_mov_b64 s[60:61], 0                                      // 00000000A0D8: BEBC0180
	v_readlane_b32 s82, v3, 0                                  // 00000000A0DC: D2890052 00010103
	s_and_b32 s82, s82, 0xffffff                               // 00000000A0E4: 8652FF52 00FFFFFF
	s_cmp_lt_u32 s82, s66                                      // 00000000A0EC: BF0A4252
	s_cselect_b32 s20, s36, s60                                // 00000000A0F0: 85143C24
	v_readlane_b32 s82, v3, 1                                  // 00000000A0F4: D2890052 00010303
	s_and_b32 s82, s82, 0xffffff                               // 00000000A0FC: 8652FF52 00FFFFFF
	s_cmp_lt_u32 s82, s66                                      // 00000000A104: BF0A4252
	s_cselect_b32 s21, s36, s60                                // 00000000A108: 85153C24
	s_mov_b64 exec, s[20:21]                                   // 00000000A10C: BEFE0114
	buffer_store_dword v84, v6, s[8:11], 0 offen               // 00000000A110: E0701000 80025406
	s_mov_b64 exec, s[36:37]                                   // 00000000A118: BEFE0124
	v_mov_b32_e32 v6, v65                                      // 00000000A11C: 7E0C0341
	s_mov_b64 s[60:61], 0                                      // 00000000A120: BEBC0180
	v_readlane_b32 s82, v3, 2                                  // 00000000A124: D2890052 00010503
	s_and_b32 s82, s82, 0xffffff                               // 00000000A12C: 8652FF52 00FFFFFF
	s_cmp_lt_u32 s82, s66                                      // 00000000A134: BF0A4252
	s_cselect_b32 s20, s36, s60                                // 00000000A138: 85143C24
	v_readlane_b32 s82, v3, 3                                  // 00000000A13C: D2890052 00010703
	s_and_b32 s82, s82, 0xffffff                               // 00000000A144: 8652FF52 00FFFFFF
	s_cmp_lt_u32 s82, s66                                      // 00000000A14C: BF0A4252
	s_cselect_b32 s21, s36, s60                                // 00000000A150: 85153C24
	s_mov_b64 exec, s[20:21]                                   // 00000000A154: BEFE0114
	buffer_store_dword v85, v6, s[8:11], 0 offen               // 00000000A158: E0701000 80025506
	s_mov_b64 exec, s[36:37]                                   // 00000000A160: BEFE0124
	v_mov_b32_e32 v6, v66                                      // 00000000A164: 7E0C0342
	s_mov_b64 s[60:61], 0                                      // 00000000A168: BEBC0180
	v_readlane_b32 s82, v3, 4                                  // 00000000A16C: D2890052 00010903
	s_and_b32 s82, s82, 0xffffff                               // 00000000A174: 8652FF52 00FFFFFF
	s_cmp_lt_u32 s82, s66                                      // 00000000A17C: BF0A4252
	s_cselect_b32 s20, s36, s60                                // 00000000A180: 85143C24
	v_readlane_b32 s82, v3, 5                                  // 00000000A184: D2890052 00010B03
	s_and_b32 s82, s82, 0xffffff                               // 00000000A18C: 8652FF52 00FFFFFF
	s_cmp_lt_u32 s82, s66                                      // 00000000A194: BF0A4252
	s_cselect_b32 s21, s36, s60                                // 00000000A198: 85153C24
	s_mov_b64 exec, s[20:21]                                   // 00000000A19C: BEFE0114
	buffer_store_dword v86, v6, s[8:11], 0 offen               // 00000000A1A0: E0701000 80025606
	s_mov_b64 exec, s[36:37]                                   // 00000000A1A8: BEFE0124
	v_mov_b32_e32 v6, v67                                      // 00000000A1AC: 7E0C0343
	s_mov_b64 s[60:61], 0                                      // 00000000A1B0: BEBC0180
	v_readlane_b32 s82, v3, 6                                  // 00000000A1B4: D2890052 00010D03
	s_and_b32 s82, s82, 0xffffff                               // 00000000A1BC: 8652FF52 00FFFFFF
	s_cmp_lt_u32 s82, s66                                      // 00000000A1C4: BF0A4252
	s_cselect_b32 s20, s36, s60                                // 00000000A1C8: 85143C24
	v_readlane_b32 s82, v3, 7                                  // 00000000A1CC: D2890052 00010F03
	s_and_b32 s82, s82, 0xffffff                               // 00000000A1D4: 8652FF52 00FFFFFF
	s_cmp_lt_u32 s82, s66                                      // 00000000A1DC: BF0A4252
	s_cselect_b32 s21, s36, s60                                // 00000000A1E0: 85153C24
	s_mov_b64 exec, s[20:21]                                   // 00000000A1E4: BEFE0114
	buffer_store_dword v87, v6, s[8:11], 0 offen               // 00000000A1E8: E0701000 80025706
	s_mov_b64 exec, s[36:37]                                   // 00000000A1F0: BEFE0124
	v_mov_b32_e32 v6, v68                                      // 00000000A1F4: 7E0C0344
	s_mov_b64 s[60:61], 0                                      // 00000000A1F8: BEBC0180
	v_readlane_b32 s82, v3, 8                                  // 00000000A1FC: D2890052 00011103
	s_and_b32 s82, s82, 0xffffff                               // 00000000A204: 8652FF52 00FFFFFF
	s_cmp_lt_u32 s82, s66                                      // 00000000A20C: BF0A4252
	s_cselect_b32 s20, s36, s60                                // 00000000A210: 85143C24
	v_readlane_b32 s82, v3, 9                                  // 00000000A214: D2890052 00011303
	s_and_b32 s82, s82, 0xffffff                               // 00000000A21C: 8652FF52 00FFFFFF
	s_cmp_lt_u32 s82, s66                                      // 00000000A224: BF0A4252
	s_cselect_b32 s21, s36, s60                                // 00000000A228: 85153C24
	s_mov_b64 exec, s[20:21]                                   // 00000000A22C: BEFE0114
	buffer_store_dword v88, v6, s[8:11], 0 offen               // 00000000A230: E0701000 80025806
	s_mov_b64 exec, s[36:37]                                   // 00000000A238: BEFE0124
	v_mov_b32_e32 v6, v69                                      // 00000000A23C: 7E0C0345
	s_mov_b64 s[60:61], 0                                      // 00000000A240: BEBC0180
	v_readlane_b32 s82, v3, 10                                 // 00000000A244: D2890052 00011503
	s_and_b32 s82, s82, 0xffffff                               // 00000000A24C: 8652FF52 00FFFFFF
	s_cmp_lt_u32 s82, s66                                      // 00000000A254: BF0A4252
	s_cselect_b32 s20, s36, s60                                // 00000000A258: 85143C24
	v_readlane_b32 s82, v3, 11                                 // 00000000A25C: D2890052 00011703
	s_and_b32 s82, s82, 0xffffff                               // 00000000A264: 8652FF52 00FFFFFF
	s_cmp_lt_u32 s82, s66                                      // 00000000A26C: BF0A4252
	s_cselect_b32 s21, s36, s60                                // 00000000A270: 85153C24
	s_mov_b64 exec, s[20:21]                                   // 00000000A274: BEFE0114
	buffer_store_dword v89, v6, s[8:11], 0 offen               // 00000000A278: E0701000 80025906
	s_mov_b64 exec, s[36:37]                                   // 00000000A280: BEFE0124
	v_mov_b32_e32 v6, v70                                      // 00000000A284: 7E0C0346
	s_mov_b64 s[60:61], 0                                      // 00000000A288: BEBC0180
	v_readlane_b32 s82, v3, 12                                 // 00000000A28C: D2890052 00011903
	s_and_b32 s82, s82, 0xffffff                               // 00000000A294: 8652FF52 00FFFFFF
	s_cmp_lt_u32 s82, s66                                      // 00000000A29C: BF0A4252
	s_cselect_b32 s20, s36, s60                                // 00000000A2A0: 85143C24
	v_readlane_b32 s82, v3, 13                                 // 00000000A2A4: D2890052 00011B03
	s_and_b32 s82, s82, 0xffffff                               // 00000000A2AC: 8652FF52 00FFFFFF
	s_cmp_lt_u32 s82, s66                                      // 00000000A2B4: BF0A4252
	s_cselect_b32 s21, s36, s60                                // 00000000A2B8: 85153C24
	s_mov_b64 exec, s[20:21]                                   // 00000000A2BC: BEFE0114
	buffer_store_dword v90, v6, s[8:11], 0 offen               // 00000000A2C0: E0701000 80025A06
	s_mov_b64 exec, s[36:37]                                   // 00000000A2C8: BEFE0124
	v_mov_b32_e32 v6, v71                                      // 00000000A2CC: 7E0C0347
	s_mov_b64 s[60:61], 0                                      // 00000000A2D0: BEBC0180
	v_readlane_b32 s82, v3, 14                                 // 00000000A2D4: D2890052 00011D03
	s_and_b32 s82, s82, 0xffffff                               // 00000000A2DC: 8652FF52 00FFFFFF
	s_cmp_lt_u32 s82, s66                                      // 00000000A2E4: BF0A4252
	s_cselect_b32 s20, s36, s60                                // 00000000A2E8: 85143C24
	v_readlane_b32 s82, v3, 15                                 // 00000000A2EC: D2890052 00011F03
	s_and_b32 s82, s82, 0xffffff                               // 00000000A2F4: 8652FF52 00FFFFFF
	s_cmp_lt_u32 s82, s66                                      // 00000000A2FC: BF0A4252
	s_cselect_b32 s21, s36, s60                                // 00000000A300: 85153C24
	s_mov_b64 exec, s[20:21]                                   // 00000000A304: BEFE0114
	buffer_store_dword v91, v6, s[8:11], 0 offen               // 00000000A308: E0701000 80025B06
	s_mov_b64 exec, s[36:37]                                   // 00000000A310: BEFE0124
	v_mov_b32_e32 v6, v72                                      // 00000000A314: 7E0C0348
	s_mov_b64 s[60:61], 0                                      // 00000000A318: BEBC0180
	v_readlane_b32 s82, v3, 16                                 // 00000000A31C: D2890052 00012103
	s_and_b32 s82, s82, 0xffffff                               // 00000000A324: 8652FF52 00FFFFFF
	s_cmp_lt_u32 s82, s66                                      // 00000000A32C: BF0A4252
	s_cselect_b32 s20, s36, s60                                // 00000000A330: 85143C24
	v_readlane_b32 s82, v3, 17                                 // 00000000A334: D2890052 00012303
	s_and_b32 s82, s82, 0xffffff                               // 00000000A33C: 8652FF52 00FFFFFF
	s_cmp_lt_u32 s82, s66                                      // 00000000A344: BF0A4252
	s_cselect_b32 s21, s36, s60                                // 00000000A348: 85153C24
	s_mov_b64 exec, s[20:21]                                   // 00000000A34C: BEFE0114
	buffer_store_dword v92, v6, s[8:11], 0 offen               // 00000000A350: E0701000 80025C06
	s_mov_b64 exec, s[36:37]                                   // 00000000A358: BEFE0124
	v_mov_b32_e32 v6, v73                                      // 00000000A35C: 7E0C0349
	s_mov_b64 s[60:61], 0                                      // 00000000A360: BEBC0180
	v_readlane_b32 s82, v3, 18                                 // 00000000A364: D2890052 00012503
	s_and_b32 s82, s82, 0xffffff                               // 00000000A36C: 8652FF52 00FFFFFF
	s_cmp_lt_u32 s82, s66                                      // 00000000A374: BF0A4252
	s_cselect_b32 s20, s36, s60                                // 00000000A378: 85143C24
	v_readlane_b32 s82, v3, 19                                 // 00000000A37C: D2890052 00012703
	s_and_b32 s82, s82, 0xffffff                               // 00000000A384: 8652FF52 00FFFFFF
	s_cmp_lt_u32 s82, s66                                      // 00000000A38C: BF0A4252
	s_cselect_b32 s21, s36, s60                                // 00000000A390: 85153C24
	s_mov_b64 exec, s[20:21]                                   // 00000000A394: BEFE0114
	buffer_store_dword v93, v6, s[8:11], 0 offen               // 00000000A398: E0701000 80025D06
	s_mov_b64 exec, s[36:37]                                   // 00000000A3A0: BEFE0124
	v_mov_b32_e32 v6, v74                                      // 00000000A3A4: 7E0C034A
	s_mov_b64 s[60:61], 0                                      // 00000000A3A8: BEBC0180
	v_readlane_b32 s82, v3, 20                                 // 00000000A3AC: D2890052 00012903
	s_and_b32 s82, s82, 0xffffff                               // 00000000A3B4: 8652FF52 00FFFFFF
	s_cmp_lt_u32 s82, s66                                      // 00000000A3BC: BF0A4252
	s_cselect_b32 s20, s36, s60                                // 00000000A3C0: 85143C24
	v_readlane_b32 s82, v3, 21                                 // 00000000A3C4: D2890052 00012B03
	s_and_b32 s82, s82, 0xffffff                               // 00000000A3CC: 8652FF52 00FFFFFF
	s_cmp_lt_u32 s82, s66                                      // 00000000A3D4: BF0A4252
	s_cselect_b32 s21, s36, s60                                // 00000000A3D8: 85153C24
	s_mov_b64 exec, s[20:21]                                   // 00000000A3DC: BEFE0114
	buffer_store_dword v94, v6, s[8:11], 0 offen               // 00000000A3E0: E0701000 80025E06
	s_mov_b64 exec, s[36:37]                                   // 00000000A3E8: BEFE0124
	v_mov_b32_e32 v6, v75                                      // 00000000A3EC: 7E0C034B
	s_mov_b64 s[60:61], 0                                      // 00000000A3F0: BEBC0180
	v_readlane_b32 s82, v3, 22                                 // 00000000A3F4: D2890052 00012D03
	s_and_b32 s82, s82, 0xffffff                               // 00000000A3FC: 8652FF52 00FFFFFF
	s_cmp_lt_u32 s82, s66                                      // 00000000A404: BF0A4252
	s_cselect_b32 s20, s36, s60                                // 00000000A408: 85143C24
	v_readlane_b32 s82, v3, 23                                 // 00000000A40C: D2890052 00012F03
	s_and_b32 s82, s82, 0xffffff                               // 00000000A414: 8652FF52 00FFFFFF
	s_cmp_lt_u32 s82, s66                                      // 00000000A41C: BF0A4252
	s_cselect_b32 s21, s36, s60                                // 00000000A420: 85153C24
	s_mov_b64 exec, s[20:21]                                   // 00000000A424: BEFE0114
	buffer_store_dword v95, v6, s[8:11], 0 offen               // 00000000A428: E0701000 80025F06
	s_mov_b64 exec, s[36:37]                                   // 00000000A430: BEFE0124
	v_mov_b32_e32 v6, v76                                      // 00000000A434: 7E0C034C
	s_mov_b64 s[60:61], 0                                      // 00000000A438: BEBC0180
	v_readlane_b32 s82, v3, 24                                 // 00000000A43C: D2890052 00013103
	s_and_b32 s82, s82, 0xffffff                               // 00000000A444: 8652FF52 00FFFFFF
	s_cmp_lt_u32 s82, s66                                      // 00000000A44C: BF0A4252
	s_cselect_b32 s20, s36, s60                                // 00000000A450: 85143C24
	v_readlane_b32 s82, v3, 25                                 // 00000000A454: D2890052 00013303
	s_and_b32 s82, s82, 0xffffff                               // 00000000A45C: 8652FF52 00FFFFFF
	s_cmp_lt_u32 s82, s66                                      // 00000000A464: BF0A4252
	s_cselect_b32 s21, s36, s60                                // 00000000A468: 85153C24
	s_mov_b64 exec, s[20:21]                                   // 00000000A46C: BEFE0114
	buffer_store_dword v96, v6, s[8:11], 0 offen               // 00000000A470: E0701000 80026006
	s_mov_b64 exec, s[36:37]                                   // 00000000A478: BEFE0124
	v_mov_b32_e32 v6, v77                                      // 00000000A47C: 7E0C034D
	s_mov_b64 s[60:61], 0                                      // 00000000A480: BEBC0180
	v_readlane_b32 s82, v3, 26                                 // 00000000A484: D2890052 00013503
	s_and_b32 s82, s82, 0xffffff                               // 00000000A48C: 8652FF52 00FFFFFF
	s_cmp_lt_u32 s82, s66                                      // 00000000A494: BF0A4252
	s_cselect_b32 s20, s36, s60                                // 00000000A498: 85143C24
	v_readlane_b32 s82, v3, 27                                 // 00000000A49C: D2890052 00013703
	s_and_b32 s82, s82, 0xffffff                               // 00000000A4A4: 8652FF52 00FFFFFF
	s_cmp_lt_u32 s82, s66                                      // 00000000A4AC: BF0A4252
	s_cselect_b32 s21, s36, s60                                // 00000000A4B0: 85153C24
	s_mov_b64 exec, s[20:21]                                   // 00000000A4B4: BEFE0114
	buffer_store_dword v97, v6, s[8:11], 0 offen               // 00000000A4B8: E0701000 80026106
	s_mov_b64 exec, s[36:37]                                   // 00000000A4C0: BEFE0124
	v_mov_b32_e32 v6, v78                                      // 00000000A4C4: 7E0C034E
	s_mov_b64 s[60:61], 0                                      // 00000000A4C8: BEBC0180
	v_readlane_b32 s82, v3, 28                                 // 00000000A4CC: D2890052 00013903
	s_and_b32 s82, s82, 0xffffff                               // 00000000A4D4: 8652FF52 00FFFFFF
	s_cmp_lt_u32 s82, s66                                      // 00000000A4DC: BF0A4252
	s_cselect_b32 s20, s36, s60                                // 00000000A4E0: 85143C24
	v_readlane_b32 s82, v3, 29                                 // 00000000A4E4: D2890052 00013B03
	s_and_b32 s82, s82, 0xffffff                               // 00000000A4EC: 8652FF52 00FFFFFF
	s_cmp_lt_u32 s82, s66                                      // 00000000A4F4: BF0A4252
	s_cselect_b32 s21, s36, s60                                // 00000000A4F8: 85153C24
	s_mov_b64 exec, s[20:21]                                   // 00000000A4FC: BEFE0114
	buffer_store_dword v98, v6, s[8:11], 0 offen               // 00000000A500: E0701000 80026206
	s_mov_b64 exec, s[36:37]                                   // 00000000A508: BEFE0124
	v_mov_b32_e32 v6, v79                                      // 00000000A50C: 7E0C034F
	s_mov_b64 s[60:61], 0                                      // 00000000A510: BEBC0180
	v_readlane_b32 s82, v3, 30                                 // 00000000A514: D2890052 00013D03
	s_and_b32 s82, s82, 0xffffff                               // 00000000A51C: 8652FF52 00FFFFFF
	s_cmp_lt_u32 s82, s66                                      // 00000000A524: BF0A4252
	s_cselect_b32 s20, s36, s60                                // 00000000A528: 85143C24
	v_readlane_b32 s82, v3, 31                                 // 00000000A52C: D2890052 00013F03
	s_and_b32 s82, s82, 0xffffff                               // 00000000A534: 8652FF52 00FFFFFF
	s_cmp_lt_u32 s82, s66                                      // 00000000A53C: BF0A4252
	s_cselect_b32 s21, s36, s60                                // 00000000A540: 85153C24
	s_mov_b64 exec, s[20:21]                                   // 00000000A544: BEFE0114
	buffer_store_dword v99, v6, s[8:11], 0 offen               // 00000000A548: E0701000 80026306
	s_mov_b64 exec, s[36:37]                                   // 00000000A550: BEFE0124
	v_mov_b32_e32 v6, v80                                      // 00000000A554: 7E0C0350
	s_mov_b64 s[60:61], 0                                      // 00000000A558: BEBC0180
	v_readlane_b32 s82, v3, 32                                 // 00000000A55C: D2890052 00014103
	s_and_b32 s82, s82, 0xffffff                               // 00000000A564: 8652FF52 00FFFFFF
	s_cmp_lt_u32 s82, s66                                      // 00000000A56C: BF0A4252
	s_cselect_b32 s20, s36, s60                                // 00000000A570: 85143C24
	v_readlane_b32 s82, v3, 33                                 // 00000000A574: D2890052 00014303
	s_and_b32 s82, s82, 0xffffff                               // 00000000A57C: 8652FF52 00FFFFFF
	s_cmp_lt_u32 s82, s66                                      // 00000000A584: BF0A4252
	s_cselect_b32 s21, s36, s60                                // 00000000A588: 85153C24
	s_mov_b64 exec, s[20:21]                                   // 00000000A58C: BEFE0114
	buffer_store_dword v100, v6, s[8:11], 0 offen              // 00000000A590: E0701000 80026406
	s_mov_b64 exec, s[36:37]                                   // 00000000A598: BEFE0124
	v_mov_b32_e32 v6, v81                                      // 00000000A59C: 7E0C0351
	s_mov_b64 s[60:61], 0                                      // 00000000A5A0: BEBC0180
	v_readlane_b32 s82, v3, 34                                 // 00000000A5A4: D2890052 00014503
	s_and_b32 s82, s82, 0xffffff                               // 00000000A5AC: 8652FF52 00FFFFFF
	s_cmp_lt_u32 s82, s66                                      // 00000000A5B4: BF0A4252
	s_cselect_b32 s20, s36, s60                                // 00000000A5B8: 85143C24
	v_readlane_b32 s82, v3, 35                                 // 00000000A5BC: D2890052 00014703
	s_and_b32 s82, s82, 0xffffff                               // 00000000A5C4: 8652FF52 00FFFFFF
	s_cmp_lt_u32 s82, s66                                      // 00000000A5CC: BF0A4252
	s_cselect_b32 s21, s36, s60                                // 00000000A5D0: 85153C24
	s_mov_b64 exec, s[20:21]                                   // 00000000A5D4: BEFE0114
	buffer_store_dword v101, v6, s[8:11], 0 offen              // 00000000A5D8: E0701000 80026506
	s_mov_b64 exec, s[36:37]                                   // 00000000A5E0: BEFE0124
	s_branch label_269B                                        // 00000000A5E4: BF82079E

000000000000a5e8 <label_1EFD>:
	ds_write_b64 v20, v[84:85]                                 // 00000000A5E8: D89A0000 00005414
	ds_write_b64 v20, v[88:89] offset:2176                     // 00000000A5F0: D89A0880 00005814
	ds_write_b64 v20, v[92:93] offset:4352                     // 00000000A5F8: D89A1100 00005C14
	ds_write_b64 v20, v[96:97] offset:6528                     // 00000000A600: D89A1980 00006014
	ds_write_b64 v20, v[100:101] offset:8704                   // 00000000A608: D89A2200 00006414
	ds_write_b64 v20, v[104:105] offset:10880                  // 00000000A610: D89A2A80 00006814
	ds_write_b64 v20, v[108:109] offset:13056                  // 00000000A618: D89A3300 00006C14
	ds_write_b64 v20, v[112:113] offset:15232                  // 00000000A620: D89A3B80 00007014
	ds_write_b64 v20, v[116:117] offset:17408                  // 00000000A628: D89A4400 00007414
	v_lshrrev_b32_e32 v4, 5, v0                                // 00000000A630: 20080085
	v_xor_b32_e32 v5, 1, v4                                    // 00000000A634: 2A0A0881
	s_mul_i32 s60, s65, 2                                      // 00000000A638: 923C8241
	s_cmp_eq_u32 s88, 0                                        // 00000000A63C: BF068058
	s_cselect_b32 s61, 1, 4                                    // 00000000A640: 853D8481
	s_mul_i32 s60, s61, s60                                    // 00000000A644: 923C3C3D
	v_readlane_b32 s82, v3, 0                                  // 00000000A648: D2890052 00010103
	s_lshr_b32 s61, s82, 24                                    // 00000000A650: 8F3D9852
	s_and_b32 s82, s82, 0xffffff                               // 00000000A654: 8652FF52 00FFFFFF
	s_mul_i32 s82, s82, s71                                    // 00000000A65C: 92524752
	s_mul_i32 s61, s60, s61                                    // 00000000A660: 923D3D3C
	s_add_u32 s82, s82, s61                                    // 00000000A664: 80523D52
	v_mul_lo_u32 v6, v5, s82                                   // 00000000A668: D2850006 0000A505
	v_readlane_b32 s82, v3, 1                                  // 00000000A670: D2890052 00010303
	s_lshr_b32 s61, s82, 24                                    // 00000000A678: 8F3D9852
	s_and_b32 s82, s82, 0xffffff                               // 00000000A67C: 8652FF52 00FFFFFF
	s_mul_i32 s82, s82, s71                                    // 00000000A684: 92524752
	s_mul_i32 s61, s60, s61                                    // 00000000A688: 923D3D3C
	s_add_u32 s82, s82, s61                                    // 00000000A68C: 80523D52
	v_mul_lo_u32 v7, v4, s82                                   // 00000000A690: D2850007 0000A504
	v_add_u32_e32 v64, v6, v7                                  // 00000000A698: 68800F06
	v_readlane_b32 s82, v3, 2                                  // 00000000A69C: D2890052 00010503
	s_lshr_b32 s61, s82, 24                                    // 00000000A6A4: 8F3D9852
	s_and_b32 s82, s82, 0xffffff                               // 00000000A6A8: 8652FF52 00FFFFFF
	s_mul_i32 s82, s82, s71                                    // 00000000A6B0: 92524752
	s_mul_i32 s61, s60, s61                                    // 00000000A6B4: 923D3D3C
	s_add_u32 s82, s82, s61                                    // 00000000A6B8: 80523D52
	v_mul_lo_u32 v6, v5, s82                                   // 00000000A6BC: D2850006 0000A505
	v_readlane_b32 s82, v3, 3                                  // 00000000A6C4: D2890052 00010703
	s_lshr_b32 s61, s82, 24                                    // 00000000A6CC: 8F3D9852
	s_and_b32 s82, s82, 0xffffff                               // 00000000A6D0: 8652FF52 00FFFFFF
	s_mul_i32 s82, s82, s71                                    // 00000000A6D8: 92524752
	s_mul_i32 s61, s60, s61                                    // 00000000A6DC: 923D3D3C
	s_add_u32 s82, s82, s61                                    // 00000000A6E0: 80523D52
	v_mul_lo_u32 v7, v4, s82                                   // 00000000A6E4: D2850007 0000A504
	v_add_u32_e32 v65, v6, v7                                  // 00000000A6EC: 68820F06
	v_readlane_b32 s82, v3, 4                                  // 00000000A6F0: D2890052 00010903
	s_lshr_b32 s61, s82, 24                                    // 00000000A6F8: 8F3D9852
	s_and_b32 s82, s82, 0xffffff                               // 00000000A6FC: 8652FF52 00FFFFFF
	s_mul_i32 s82, s82, s71                                    // 00000000A704: 92524752
	s_mul_i32 s61, s60, s61                                    // 00000000A708: 923D3D3C
	s_add_u32 s82, s82, s61                                    // 00000000A70C: 80523D52
	v_mul_lo_u32 v6, v5, s82                                   // 00000000A710: D2850006 0000A505
	v_readlane_b32 s82, v3, 5                                  // 00000000A718: D2890052 00010B03
	s_lshr_b32 s61, s82, 24                                    // 00000000A720: 8F3D9852
	s_and_b32 s82, s82, 0xffffff                               // 00000000A724: 8652FF52 00FFFFFF
	s_mul_i32 s82, s82, s71                                    // 00000000A72C: 92524752
	s_mul_i32 s61, s60, s61                                    // 00000000A730: 923D3D3C
	s_add_u32 s82, s82, s61                                    // 00000000A734: 80523D52
	v_mul_lo_u32 v7, v4, s82                                   // 00000000A738: D2850007 0000A504
	v_add_u32_e32 v66, v6, v7                                  // 00000000A740: 68840F06
	v_readlane_b32 s82, v3, 6                                  // 00000000A744: D2890052 00010D03
	s_lshr_b32 s61, s82, 24                                    // 00000000A74C: 8F3D9852
	s_and_b32 s82, s82, 0xffffff                               // 00000000A750: 8652FF52 00FFFFFF
	s_mul_i32 s82, s82, s71                                    // 00000000A758: 92524752
	s_mul_i32 s61, s60, s61                                    // 00000000A75C: 923D3D3C
	s_add_u32 s82, s82, s61                                    // 00000000A760: 80523D52
	v_mul_lo_u32 v6, v5, s82                                   // 00000000A764: D2850006 0000A505
	v_readlane_b32 s82, v3, 7                                  // 00000000A76C: D2890052 00010F03
	s_lshr_b32 s61, s82, 24                                    // 00000000A774: 8F3D9852
	s_and_b32 s82, s82, 0xffffff                               // 00000000A778: 8652FF52 00FFFFFF
	s_mul_i32 s82, s82, s71                                    // 00000000A780: 92524752
	s_mul_i32 s61, s60, s61                                    // 00000000A784: 923D3D3C
	s_add_u32 s82, s82, s61                                    // 00000000A788: 80523D52
	v_mul_lo_u32 v7, v4, s82                                   // 00000000A78C: D2850007 0000A504
	v_add_u32_e32 v67, v6, v7                                  // 00000000A794: 68860F06
	v_readlane_b32 s82, v3, 8                                  // 00000000A798: D2890052 00011103
	s_lshr_b32 s61, s82, 24                                    // 00000000A7A0: 8F3D9852
	s_and_b32 s82, s82, 0xffffff                               // 00000000A7A4: 8652FF52 00FFFFFF
	s_mul_i32 s82, s82, s71                                    // 00000000A7AC: 92524752
	s_mul_i32 s61, s60, s61                                    // 00000000A7B0: 923D3D3C
	s_add_u32 s82, s82, s61                                    // 00000000A7B4: 80523D52
	v_mul_lo_u32 v6, v5, s82                                   // 00000000A7B8: D2850006 0000A505
	v_readlane_b32 s82, v3, 9                                  // 00000000A7C0: D2890052 00011303
	s_lshr_b32 s61, s82, 24                                    // 00000000A7C8: 8F3D9852
	s_and_b32 s82, s82, 0xffffff                               // 00000000A7CC: 8652FF52 00FFFFFF
	s_mul_i32 s82, s82, s71                                    // 00000000A7D4: 92524752
	s_mul_i32 s61, s60, s61                                    // 00000000A7D8: 923D3D3C
	s_add_u32 s82, s82, s61                                    // 00000000A7DC: 80523D52
	v_mul_lo_u32 v7, v4, s82                                   // 00000000A7E0: D2850007 0000A504
	v_add_u32_e32 v68, v6, v7                                  // 00000000A7E8: 68880F06
	v_readlane_b32 s82, v3, 10                                 // 00000000A7EC: D2890052 00011503
	s_lshr_b32 s61, s82, 24                                    // 00000000A7F4: 8F3D9852
	s_and_b32 s82, s82, 0xffffff                               // 00000000A7F8: 8652FF52 00FFFFFF
	s_mul_i32 s82, s82, s71                                    // 00000000A800: 92524752
	s_mul_i32 s61, s60, s61                                    // 00000000A804: 923D3D3C
	s_add_u32 s82, s82, s61                                    // 00000000A808: 80523D52
	v_mul_lo_u32 v6, v5, s82                                   // 00000000A80C: D2850006 0000A505
	v_readlane_b32 s82, v3, 11                                 // 00000000A814: D2890052 00011703
	s_lshr_b32 s61, s82, 24                                    // 00000000A81C: 8F3D9852
	s_and_b32 s82, s82, 0xffffff                               // 00000000A820: 8652FF52 00FFFFFF
	s_mul_i32 s82, s82, s71                                    // 00000000A828: 92524752
	s_mul_i32 s61, s60, s61                                    // 00000000A82C: 923D3D3C
	s_add_u32 s82, s82, s61                                    // 00000000A830: 80523D52
	v_mul_lo_u32 v7, v4, s82                                   // 00000000A834: D2850007 0000A504
	v_add_u32_e32 v69, v6, v7                                  // 00000000A83C: 688A0F06
	v_readlane_b32 s82, v3, 12                                 // 00000000A840: D2890052 00011903
	s_lshr_b32 s61, s82, 24                                    // 00000000A848: 8F3D9852
	s_and_b32 s82, s82, 0xffffff                               // 00000000A84C: 8652FF52 00FFFFFF
	s_mul_i32 s82, s82, s71                                    // 00000000A854: 92524752
	s_mul_i32 s61, s60, s61                                    // 00000000A858: 923D3D3C
	s_add_u32 s82, s82, s61                                    // 00000000A85C: 80523D52
	v_mul_lo_u32 v6, v5, s82                                   // 00000000A860: D2850006 0000A505
	v_readlane_b32 s82, v3, 13                                 // 00000000A868: D2890052 00011B03
	s_lshr_b32 s61, s82, 24                                    // 00000000A870: 8F3D9852
	s_and_b32 s82, s82, 0xffffff                               // 00000000A874: 8652FF52 00FFFFFF
	s_mul_i32 s82, s82, s71                                    // 00000000A87C: 92524752
	s_mul_i32 s61, s60, s61                                    // 00000000A880: 923D3D3C
	s_add_u32 s82, s82, s61                                    // 00000000A884: 80523D52
	v_mul_lo_u32 v7, v4, s82                                   // 00000000A888: D2850007 0000A504
	v_add_u32_e32 v70, v6, v7                                  // 00000000A890: 688C0F06
	v_readlane_b32 s82, v3, 14                                 // 00000000A894: D2890052 00011D03
	s_lshr_b32 s61, s82, 24                                    // 00000000A89C: 8F3D9852
	s_and_b32 s82, s82, 0xffffff                               // 00000000A8A0: 8652FF52 00FFFFFF
	s_mul_i32 s82, s82, s71                                    // 00000000A8A8: 92524752
	s_mul_i32 s61, s60, s61                                    // 00000000A8AC: 923D3D3C
	s_add_u32 s82, s82, s61                                    // 00000000A8B0: 80523D52
	v_mul_lo_u32 v6, v5, s82                                   // 00000000A8B4: D2850006 0000A505
	v_readlane_b32 s82, v3, 15                                 // 00000000A8BC: D2890052 00011F03
	s_lshr_b32 s61, s82, 24                                    // 00000000A8C4: 8F3D9852
	s_and_b32 s82, s82, 0xffffff                               // 00000000A8C8: 8652FF52 00FFFFFF
	s_mul_i32 s82, s82, s71                                    // 00000000A8D0: 92524752
	s_mul_i32 s61, s60, s61                                    // 00000000A8D4: 923D3D3C
	s_add_u32 s82, s82, s61                                    // 00000000A8D8: 80523D52
	v_mul_lo_u32 v7, v4, s82                                   // 00000000A8DC: D2850007 0000A504
	v_add_u32_e32 v71, v6, v7                                  // 00000000A8E4: 688E0F06
	v_readlane_b32 s82, v3, 16                                 // 00000000A8E8: D2890052 00012103
	s_lshr_b32 s61, s82, 24                                    // 00000000A8F0: 8F3D9852
	s_and_b32 s82, s82, 0xffffff                               // 00000000A8F4: 8652FF52 00FFFFFF
	s_mul_i32 s82, s82, s71                                    // 00000000A8FC: 92524752
	s_mul_i32 s61, s60, s61                                    // 00000000A900: 923D3D3C
	s_add_u32 s82, s82, s61                                    // 00000000A904: 80523D52
	v_mul_lo_u32 v6, v5, s82                                   // 00000000A908: D2850006 0000A505
	v_readlane_b32 s82, v3, 17                                 // 00000000A910: D2890052 00012303
	s_lshr_b32 s61, s82, 24                                    // 00000000A918: 8F3D9852
	s_and_b32 s82, s82, 0xffffff                               // 00000000A91C: 8652FF52 00FFFFFF
	s_mul_i32 s82, s82, s71                                    // 00000000A924: 92524752
	s_mul_i32 s61, s60, s61                                    // 00000000A928: 923D3D3C
	s_add_u32 s82, s82, s61                                    // 00000000A92C: 80523D52
	v_mul_lo_u32 v7, v4, s82                                   // 00000000A930: D2850007 0000A504
	v_add_u32_e32 v72, v6, v7                                  // 00000000A938: 68900F06
	v_readlane_b32 s82, v3, 18                                 // 00000000A93C: D2890052 00012503
	s_lshr_b32 s61, s82, 24                                    // 00000000A944: 8F3D9852
	s_and_b32 s82, s82, 0xffffff                               // 00000000A948: 8652FF52 00FFFFFF
	s_mul_i32 s82, s82, s71                                    // 00000000A950: 92524752
	s_mul_i32 s61, s60, s61                                    // 00000000A954: 923D3D3C
	s_add_u32 s82, s82, s61                                    // 00000000A958: 80523D52
	v_mul_lo_u32 v6, v5, s82                                   // 00000000A95C: D2850006 0000A505
	v_readlane_b32 s82, v3, 19                                 // 00000000A964: D2890052 00012703
	s_lshr_b32 s61, s82, 24                                    // 00000000A96C: 8F3D9852
	s_and_b32 s82, s82, 0xffffff                               // 00000000A970: 8652FF52 00FFFFFF
	s_mul_i32 s82, s82, s71                                    // 00000000A978: 92524752
	s_mul_i32 s61, s60, s61                                    // 00000000A97C: 923D3D3C
	s_add_u32 s82, s82, s61                                    // 00000000A980: 80523D52
	v_mul_lo_u32 v7, v4, s82                                   // 00000000A984: D2850007 0000A504
	v_add_u32_e32 v73, v6, v7                                  // 00000000A98C: 68920F06
	v_readlane_b32 s82, v3, 20                                 // 00000000A990: D2890052 00012903
	s_lshr_b32 s61, s82, 24                                    // 00000000A998: 8F3D9852
	s_and_b32 s82, s82, 0xffffff                               // 00000000A99C: 8652FF52 00FFFFFF
	s_mul_i32 s82, s82, s71                                    // 00000000A9A4: 92524752
	s_mul_i32 s61, s60, s61                                    // 00000000A9A8: 923D3D3C
	s_add_u32 s82, s82, s61                                    // 00000000A9AC: 80523D52
	v_mul_lo_u32 v6, v5, s82                                   // 00000000A9B0: D2850006 0000A505
	v_readlane_b32 s82, v3, 21                                 // 00000000A9B8: D2890052 00012B03
	s_lshr_b32 s61, s82, 24                                    // 00000000A9C0: 8F3D9852
	s_and_b32 s82, s82, 0xffffff                               // 00000000A9C4: 8652FF52 00FFFFFF
	s_mul_i32 s82, s82, s71                                    // 00000000A9CC: 92524752
	s_mul_i32 s61, s60, s61                                    // 00000000A9D0: 923D3D3C
	s_add_u32 s82, s82, s61                                    // 00000000A9D4: 80523D52
	v_mul_lo_u32 v7, v4, s82                                   // 00000000A9D8: D2850007 0000A504
	v_add_u32_e32 v74, v6, v7                                  // 00000000A9E0: 68940F06
	v_readlane_b32 s82, v3, 22                                 // 00000000A9E4: D2890052 00012D03
	s_lshr_b32 s61, s82, 24                                    // 00000000A9EC: 8F3D9852
	s_and_b32 s82, s82, 0xffffff                               // 00000000A9F0: 8652FF52 00FFFFFF
	s_mul_i32 s82, s82, s71                                    // 00000000A9F8: 92524752
	s_mul_i32 s61, s60, s61                                    // 00000000A9FC: 923D3D3C
	s_add_u32 s82, s82, s61                                    // 00000000AA00: 80523D52
	v_mul_lo_u32 v6, v5, s82                                   // 00000000AA04: D2850006 0000A505
	v_readlane_b32 s82, v3, 23                                 // 00000000AA0C: D2890052 00012F03
	s_lshr_b32 s61, s82, 24                                    // 00000000AA14: 8F3D9852
	s_and_b32 s82, s82, 0xffffff                               // 00000000AA18: 8652FF52 00FFFFFF
	s_mul_i32 s82, s82, s71                                    // 00000000AA20: 92524752
	s_mul_i32 s61, s60, s61                                    // 00000000AA24: 923D3D3C
	s_add_u32 s82, s82, s61                                    // 00000000AA28: 80523D52
	v_mul_lo_u32 v7, v4, s82                                   // 00000000AA2C: D2850007 0000A504
	v_add_u32_e32 v75, v6, v7                                  // 00000000AA34: 68960F06
	v_readlane_b32 s82, v3, 24                                 // 00000000AA38: D2890052 00013103
	s_lshr_b32 s61, s82, 24                                    // 00000000AA40: 8F3D9852
	s_and_b32 s82, s82, 0xffffff                               // 00000000AA44: 8652FF52 00FFFFFF
	s_mul_i32 s82, s82, s71                                    // 00000000AA4C: 92524752
	s_mul_i32 s61, s60, s61                                    // 00000000AA50: 923D3D3C
	s_add_u32 s82, s82, s61                                    // 00000000AA54: 80523D52
	v_mul_lo_u32 v6, v5, s82                                   // 00000000AA58: D2850006 0000A505
	v_readlane_b32 s82, v3, 25                                 // 00000000AA60: D2890052 00013303
	s_lshr_b32 s61, s82, 24                                    // 00000000AA68: 8F3D9852
	s_and_b32 s82, s82, 0xffffff                               // 00000000AA6C: 8652FF52 00FFFFFF
	s_mul_i32 s82, s82, s71                                    // 00000000AA74: 92524752
	s_mul_i32 s61, s60, s61                                    // 00000000AA78: 923D3D3C
	s_add_u32 s82, s82, s61                                    // 00000000AA7C: 80523D52
	v_mul_lo_u32 v7, v4, s82                                   // 00000000AA80: D2850007 0000A504
	v_add_u32_e32 v76, v6, v7                                  // 00000000AA88: 68980F06
	v_readlane_b32 s82, v3, 26                                 // 00000000AA8C: D2890052 00013503
	s_lshr_b32 s61, s82, 24                                    // 00000000AA94: 8F3D9852
	s_and_b32 s82, s82, 0xffffff                               // 00000000AA98: 8652FF52 00FFFFFF
	s_mul_i32 s82, s82, s71                                    // 00000000AAA0: 92524752
	s_mul_i32 s61, s60, s61                                    // 00000000AAA4: 923D3D3C
	s_add_u32 s82, s82, s61                                    // 00000000AAA8: 80523D52
	v_mul_lo_u32 v6, v5, s82                                   // 00000000AAAC: D2850006 0000A505
	v_readlane_b32 s82, v3, 27                                 // 00000000AAB4: D2890052 00013703
	s_lshr_b32 s61, s82, 24                                    // 00000000AABC: 8F3D9852
	s_and_b32 s82, s82, 0xffffff                               // 00000000AAC0: 8652FF52 00FFFFFF
	s_mul_i32 s82, s82, s71                                    // 00000000AAC8: 92524752
	s_mul_i32 s61, s60, s61                                    // 00000000AACC: 923D3D3C
	s_add_u32 s82, s82, s61                                    // 00000000AAD0: 80523D52
	v_mul_lo_u32 v7, v4, s82                                   // 00000000AAD4: D2850007 0000A504
	v_add_u32_e32 v77, v6, v7                                  // 00000000AADC: 689A0F06
	v_readlane_b32 s82, v3, 28                                 // 00000000AAE0: D2890052 00013903
	s_lshr_b32 s61, s82, 24                                    // 00000000AAE8: 8F3D9852
	s_and_b32 s82, s82, 0xffffff                               // 00000000AAEC: 8652FF52 00FFFFFF
	s_mul_i32 s82, s82, s71                                    // 00000000AAF4: 92524752
	s_mul_i32 s61, s60, s61                                    // 00000000AAF8: 923D3D3C
	s_add_u32 s82, s82, s61                                    // 00000000AAFC: 80523D52
	v_mul_lo_u32 v6, v5, s82                                   // 00000000AB00: D2850006 0000A505
	v_readlane_b32 s82, v3, 29                                 // 00000000AB08: D2890052 00013B03
	s_lshr_b32 s61, s82, 24                                    // 00000000AB10: 8F3D9852
	s_and_b32 s82, s82, 0xffffff                               // 00000000AB14: 8652FF52 00FFFFFF
	s_mul_i32 s82, s82, s71                                    // 00000000AB1C: 92524752
	s_mul_i32 s61, s60, s61                                    // 00000000AB20: 923D3D3C
	s_add_u32 s82, s82, s61                                    // 00000000AB24: 80523D52
	v_mul_lo_u32 v7, v4, s82                                   // 00000000AB28: D2850007 0000A504
	v_add_u32_e32 v78, v6, v7                                  // 00000000AB30: 689C0F06
	v_readlane_b32 s82, v3, 30                                 // 00000000AB34: D2890052 00013D03
	s_lshr_b32 s61, s82, 24                                    // 00000000AB3C: 8F3D9852
	s_and_b32 s82, s82, 0xffffff                               // 00000000AB40: 8652FF52 00FFFFFF
	s_mul_i32 s82, s82, s71                                    // 00000000AB48: 92524752
	s_mul_i32 s61, s60, s61                                    // 00000000AB4C: 923D3D3C
	s_add_u32 s82, s82, s61                                    // 00000000AB50: 80523D52
	v_mul_lo_u32 v6, v5, s82                                   // 00000000AB54: D2850006 0000A505
	v_readlane_b32 s82, v3, 31                                 // 00000000AB5C: D2890052 00013F03
	s_lshr_b32 s61, s82, 24                                    // 00000000AB64: 8F3D9852
	s_and_b32 s82, s82, 0xffffff                               // 00000000AB68: 8652FF52 00FFFFFF
	s_mul_i32 s82, s82, s71                                    // 00000000AB70: 92524752
	s_mul_i32 s61, s60, s61                                    // 00000000AB74: 923D3D3C
	s_add_u32 s82, s82, s61                                    // 00000000AB78: 80523D52
	v_mul_lo_u32 v7, v4, s82                                   // 00000000AB7C: D2850007 0000A504
	v_add_u32_e32 v79, v6, v7                                  // 00000000AB84: 689E0F06
	v_readlane_b32 s82, v3, 32                                 // 00000000AB88: D2890052 00014103
	s_lshr_b32 s61, s82, 24                                    // 00000000AB90: 8F3D9852
	s_and_b32 s82, s82, 0xffffff                               // 00000000AB94: 8652FF52 00FFFFFF
	s_mul_i32 s82, s82, s71                                    // 00000000AB9C: 92524752
	s_mul_i32 s61, s60, s61                                    // 00000000ABA0: 923D3D3C
	s_add_u32 s82, s82, s61                                    // 00000000ABA4: 80523D52
	v_mul_lo_u32 v6, v5, s82                                   // 00000000ABA8: D2850006 0000A505
	v_readlane_b32 s82, v3, 33                                 // 00000000ABB0: D2890052 00014303
	s_lshr_b32 s61, s82, 24                                    // 00000000ABB8: 8F3D9852
	s_and_b32 s82, s82, 0xffffff                               // 00000000ABBC: 8652FF52 00FFFFFF
	s_mul_i32 s82, s82, s71                                    // 00000000ABC4: 92524752
	s_mul_i32 s61, s60, s61                                    // 00000000ABC8: 923D3D3C
	s_add_u32 s82, s82, s61                                    // 00000000ABCC: 80523D52
	v_mul_lo_u32 v7, v4, s82                                   // 00000000ABD0: D2850007 0000A504
	v_add_u32_e32 v80, v6, v7                                  // 00000000ABD8: 68A00F06
	v_readlane_b32 s82, v3, 34                                 // 00000000ABDC: D2890052 00014503
	s_lshr_b32 s61, s82, 24                                    // 00000000ABE4: 8F3D9852
	s_and_b32 s82, s82, 0xffffff                               // 00000000ABE8: 8652FF52 00FFFFFF
	s_mul_i32 s82, s82, s71                                    // 00000000ABF0: 92524752
	s_mul_i32 s61, s60, s61                                    // 00000000ABF4: 923D3D3C
	s_add_u32 s82, s82, s61                                    // 00000000ABF8: 80523D52
	v_mul_lo_u32 v6, v5, s82                                   // 00000000ABFC: D2850006 0000A505
	v_readlane_b32 s82, v3, 35                                 // 00000000AC04: D2890052 00014703
	s_lshr_b32 s61, s82, 24                                    // 00000000AC0C: 8F3D9852
	s_and_b32 s82, s82, 0xffffff                               // 00000000AC10: 8652FF52 00FFFFFF
	s_mul_i32 s82, s82, s71                                    // 00000000AC18: 92524752
	s_mul_i32 s61, s60, s61                                    // 00000000AC1C: 923D3D3C
	s_add_u32 s82, s82, s61                                    // 00000000AC20: 80523D52
	v_mul_lo_u32 v7, v4, s82                                   // 00000000AC24: D2850007 0000A504
	v_add_u32_e32 v81, v6, v7                                  // 00000000AC2C: 68A20F06
	v_and_b32_e32 v4, 31, v0                                   // 00000000AC30: 2608009F
	v_lshrrev_b32_e32 v4, 1, v4                                // 00000000AC34: 20080881
	s_cmp_eq_u32 s88, 0                                        // 00000000AC38: BF068058
	s_cselect_b32 s61, 2, 4                                    // 00000000AC3C: 853D8482
	v_mul_lo_u32 v4, v4, s61                                   // 00000000AC40: D2850004 00007B04
	v_and_b32_e64 v5, v0, 1                                    // 00000000AC48: D1130005 00010300
	v_add_u32_e32 v4, v4, v5                                   // 00000000AC50: 68080B04
	v_lshlrev_b32_e32 v4, 2, v4                                // 00000000AC54: 24080882
	v_add_u32_e32 v64, v64, v4                                 // 00000000AC58: 68800940
	v_add_u32_e32 v65, v65, v4                                 // 00000000AC5C: 68820941
	v_add_u32_e32 v66, v66, v4                                 // 00000000AC60: 68840942
	v_add_u32_e32 v67, v67, v4                                 // 00000000AC64: 68860943
	v_add_u32_e32 v68, v68, v4                                 // 00000000AC68: 68880944
	v_add_u32_e32 v69, v69, v4                                 // 00000000AC6C: 688A0945
	v_add_u32_e32 v70, v70, v4                                 // 00000000AC70: 688C0946
	v_add_u32_e32 v71, v71, v4                                 // 00000000AC74: 688E0947
	v_add_u32_e32 v72, v72, v4                                 // 00000000AC78: 68900948
	v_add_u32_e32 v73, v73, v4                                 // 00000000AC7C: 68920949
	v_add_u32_e32 v74, v74, v4                                 // 00000000AC80: 6894094A
	v_add_u32_e32 v75, v75, v4                                 // 00000000AC84: 6896094B
	v_add_u32_e32 v76, v76, v4                                 // 00000000AC88: 6898094C
	v_add_u32_e32 v77, v77, v4                                 // 00000000AC8C: 689A094D
	v_add_u32_e32 v78, v78, v4                                 // 00000000AC90: 689C094E
	v_add_u32_e32 v79, v79, v4                                 // 00000000AC94: 689E094F
	v_add_u32_e32 v80, v80, v4                                 // 00000000AC98: 68A00950
	v_add_u32_e32 v81, v81, v4                                 // 00000000AC9C: 68A20951
	s_waitcnt lgkmcnt(0)                                       // 00000000ACA0: BF8CC07F
	s_barrier                                                  // 00000000ACA4: BF8A0000
	ds_read_b32 v84, v21                                       // 00000000ACA8: D86C0000 54000015
	ds_read_b32 v85, v21 offset:64                             // 00000000ACB0: D86C0040 55000015
	ds_read_b32 v88, v21 offset:2176                           // 00000000ACB8: D86C0880 58000015
	ds_read_b32 v89, v21 offset:2240                           // 00000000ACC0: D86C08C0 59000015
	ds_read_b32 v92, v21 offset:4352                           // 00000000ACC8: D86C1100 5C000015
	ds_read_b32 v93, v21 offset:4416                           // 00000000ACD0: D86C1140 5D000015
	ds_read_b32 v96, v21 offset:6528                           // 00000000ACD8: D86C1980 60000015
	ds_read_b32 v97, v21 offset:6592                           // 00000000ACE0: D86C19C0 61000015
	ds_read_b32 v100, v21 offset:8704                          // 00000000ACE8: D86C2200 64000015
	ds_read_b32 v101, v21 offset:8768                          // 00000000ACF0: D86C2240 65000015
	ds_read_b32 v104, v21 offset:10880                         // 00000000ACF8: D86C2A80 68000015
	ds_read_b32 v105, v21 offset:10944                         // 00000000AD00: D86C2AC0 69000015
	ds_read_b32 v108, v21 offset:13056                         // 00000000AD08: D86C3300 6C000015
	ds_read_b32 v109, v21 offset:13120                         // 00000000AD10: D86C3340 6D000015
	ds_read_b32 v112, v21 offset:15232                         // 00000000AD18: D86C3B80 70000015
	ds_read_b32 v113, v21 offset:15296                         // 00000000AD20: D86C3BC0 71000015
	ds_read_b32 v116, v21 offset:17408                         // 00000000AD28: D86C4400 74000015
	ds_read_b32 v117, v21 offset:17472                         // 00000000AD30: D86C4440 75000015
	s_waitcnt lgkmcnt(0)                                       // 00000000AD38: BF8CC07F
	s_mov_b32 s36, -1                                          // 00000000AD3C: BEA400C1
	s_mov_b32 s37, -1                                          // 00000000AD40: BEA500C1
	v_mov_b32_e32 v7, 0                                        // 00000000AD44: 7E0E0280
	s_mov_b64 exec, s[36:37]                                   // 00000000AD48: BEFE0124
	v_mov_b32_e32 v6, v64                                      // 00000000AD4C: 7E0C0340
	s_mov_b64 s[60:61], 0                                      // 00000000AD50: BEBC0180
	v_readlane_b32 s82, v3, 0                                  // 00000000AD54: D2890052 00010103
	s_and_b32 s82, s82, 0xffffff                               // 00000000AD5C: 8652FF52 00FFFFFF
	s_cmp_lt_u32 s82, s66                                      // 00000000AD64: BF0A4252
	s_cselect_b32 s20, s36, s60                                // 00000000AD68: 85143C24
	v_readlane_b32 s82, v3, 1                                  // 00000000AD6C: D2890052 00010303
	s_and_b32 s82, s82, 0xffffff                               // 00000000AD74: 8652FF52 00FFFFFF
	s_cmp_lt_u32 s82, s66                                      // 00000000AD7C: BF0A4252
	s_cselect_b32 s21, s36, s60                                // 00000000AD80: 85153C24
	s_mov_b64 exec, s[20:21]                                   // 00000000AD84: BEFE0114
	global_atomic_add_f32 v6, v84, s[8:9]                      // 00000000AD88: DD348000 00085406
	s_mov_b64 exec, s[36:37]                                   // 00000000AD90: BEFE0124
	v_mov_b32_e32 v6, v65                                      // 00000000AD94: 7E0C0341
	s_mov_b64 s[60:61], 0                                      // 00000000AD98: BEBC0180
	v_readlane_b32 s82, v3, 2                                  // 00000000AD9C: D2890052 00010503
	s_and_b32 s82, s82, 0xffffff                               // 00000000ADA4: 8652FF52 00FFFFFF
	s_cmp_lt_u32 s82, s66                                      // 00000000ADAC: BF0A4252
	s_cselect_b32 s20, s36, s60                                // 00000000ADB0: 85143C24
	v_readlane_b32 s82, v3, 3                                  // 00000000ADB4: D2890052 00010703
	s_and_b32 s82, s82, 0xffffff                               // 00000000ADBC: 8652FF52 00FFFFFF
	s_cmp_lt_u32 s82, s66                                      // 00000000ADC4: BF0A4252
	s_cselect_b32 s21, s36, s60                                // 00000000ADC8: 85153C24
	s_mov_b64 exec, s[20:21]                                   // 00000000ADCC: BEFE0114
	global_atomic_add_f32 v6, v85, s[8:9]                      // 00000000ADD0: DD348000 00085506
	s_mov_b64 exec, s[36:37]                                   // 00000000ADD8: BEFE0124
	v_mov_b32_e32 v6, v66                                      // 00000000ADDC: 7E0C0342
	s_mov_b64 s[60:61], 0                                      // 00000000ADE0: BEBC0180
	v_readlane_b32 s82, v3, 4                                  // 00000000ADE4: D2890052 00010903
	s_and_b32 s82, s82, 0xffffff                               // 00000000ADEC: 8652FF52 00FFFFFF
	s_cmp_lt_u32 s82, s66                                      // 00000000ADF4: BF0A4252
	s_cselect_b32 s20, s36, s60                                // 00000000ADF8: 85143C24
	v_readlane_b32 s82, v3, 5                                  // 00000000ADFC: D2890052 00010B03
	s_and_b32 s82, s82, 0xffffff                               // 00000000AE04: 8652FF52 00FFFFFF
	s_cmp_lt_u32 s82, s66                                      // 00000000AE0C: BF0A4252
	s_cselect_b32 s21, s36, s60                                // 00000000AE10: 85153C24
	s_mov_b64 exec, s[20:21]                                   // 00000000AE14: BEFE0114
	global_atomic_add_f32 v6, v88, s[8:9]                      // 00000000AE18: DD348000 00085806
	s_mov_b64 exec, s[36:37]                                   // 00000000AE20: BEFE0124
	v_mov_b32_e32 v6, v67                                      // 00000000AE24: 7E0C0343
	s_mov_b64 s[60:61], 0                                      // 00000000AE28: BEBC0180
	v_readlane_b32 s82, v3, 6                                  // 00000000AE2C: D2890052 00010D03
	s_and_b32 s82, s82, 0xffffff                               // 00000000AE34: 8652FF52 00FFFFFF
	s_cmp_lt_u32 s82, s66                                      // 00000000AE3C: BF0A4252
	s_cselect_b32 s20, s36, s60                                // 00000000AE40: 85143C24
	v_readlane_b32 s82, v3, 7                                  // 00000000AE44: D2890052 00010F03
	s_and_b32 s82, s82, 0xffffff                               // 00000000AE4C: 8652FF52 00FFFFFF
	s_cmp_lt_u32 s82, s66                                      // 00000000AE54: BF0A4252
	s_cselect_b32 s21, s36, s60                                // 00000000AE58: 85153C24
	s_mov_b64 exec, s[20:21]                                   // 00000000AE5C: BEFE0114
	global_atomic_add_f32 v6, v89, s[8:9]                      // 00000000AE60: DD348000 00085906
	s_mov_b64 exec, s[36:37]                                   // 00000000AE68: BEFE0124
	v_mov_b32_e32 v6, v68                                      // 00000000AE6C: 7E0C0344
	s_mov_b64 s[60:61], 0                                      // 00000000AE70: BEBC0180
	v_readlane_b32 s82, v3, 8                                  // 00000000AE74: D2890052 00011103
	s_and_b32 s82, s82, 0xffffff                               // 00000000AE7C: 8652FF52 00FFFFFF
	s_cmp_lt_u32 s82, s66                                      // 00000000AE84: BF0A4252
	s_cselect_b32 s20, s36, s60                                // 00000000AE88: 85143C24
	v_readlane_b32 s82, v3, 9                                  // 00000000AE8C: D2890052 00011303
	s_and_b32 s82, s82, 0xffffff                               // 00000000AE94: 8652FF52 00FFFFFF
	s_cmp_lt_u32 s82, s66                                      // 00000000AE9C: BF0A4252
	s_cselect_b32 s21, s36, s60                                // 00000000AEA0: 85153C24
	s_mov_b64 exec, s[20:21]                                   // 00000000AEA4: BEFE0114
	global_atomic_add_f32 v6, v92, s[8:9]                      // 00000000AEA8: DD348000 00085C06
	s_mov_b64 exec, s[36:37]                                   // 00000000AEB0: BEFE0124
	v_mov_b32_e32 v6, v69                                      // 00000000AEB4: 7E0C0345
	s_mov_b64 s[60:61], 0                                      // 00000000AEB8: BEBC0180
	v_readlane_b32 s82, v3, 10                                 // 00000000AEBC: D2890052 00011503
	s_and_b32 s82, s82, 0xffffff                               // 00000000AEC4: 8652FF52 00FFFFFF
	s_cmp_lt_u32 s82, s66                                      // 00000000AECC: BF0A4252
	s_cselect_b32 s20, s36, s60                                // 00000000AED0: 85143C24
	v_readlane_b32 s82, v3, 11                                 // 00000000AED4: D2890052 00011703
	s_and_b32 s82, s82, 0xffffff                               // 00000000AEDC: 8652FF52 00FFFFFF
	s_cmp_lt_u32 s82, s66                                      // 00000000AEE4: BF0A4252
	s_cselect_b32 s21, s36, s60                                // 00000000AEE8: 85153C24
	s_mov_b64 exec, s[20:21]                                   // 00000000AEEC: BEFE0114
	global_atomic_add_f32 v6, v93, s[8:9]                      // 00000000AEF0: DD348000 00085D06
	s_mov_b64 exec, s[36:37]                                   // 00000000AEF8: BEFE0124
	v_mov_b32_e32 v6, v70                                      // 00000000AEFC: 7E0C0346
	s_mov_b64 s[60:61], 0                                      // 00000000AF00: BEBC0180
	v_readlane_b32 s82, v3, 12                                 // 00000000AF04: D2890052 00011903
	s_and_b32 s82, s82, 0xffffff                               // 00000000AF0C: 8652FF52 00FFFFFF
	s_cmp_lt_u32 s82, s66                                      // 00000000AF14: BF0A4252
	s_cselect_b32 s20, s36, s60                                // 00000000AF18: 85143C24
	v_readlane_b32 s82, v3, 13                                 // 00000000AF1C: D2890052 00011B03
	s_and_b32 s82, s82, 0xffffff                               // 00000000AF24: 8652FF52 00FFFFFF
	s_cmp_lt_u32 s82, s66                                      // 00000000AF2C: BF0A4252
	s_cselect_b32 s21, s36, s60                                // 00000000AF30: 85153C24
	s_mov_b64 exec, s[20:21]                                   // 00000000AF34: BEFE0114
	global_atomic_add_f32 v6, v96, s[8:9]                      // 00000000AF38: DD348000 00086006
	s_mov_b64 exec, s[36:37]                                   // 00000000AF40: BEFE0124
	v_mov_b32_e32 v6, v71                                      // 00000000AF44: 7E0C0347
	s_mov_b64 s[60:61], 0                                      // 00000000AF48: BEBC0180
	v_readlane_b32 s82, v3, 14                                 // 00000000AF4C: D2890052 00011D03
	s_and_b32 s82, s82, 0xffffff                               // 00000000AF54: 8652FF52 00FFFFFF
	s_cmp_lt_u32 s82, s66                                      // 00000000AF5C: BF0A4252
	s_cselect_b32 s20, s36, s60                                // 00000000AF60: 85143C24
	v_readlane_b32 s82, v3, 15                                 // 00000000AF64: D2890052 00011F03
	s_and_b32 s82, s82, 0xffffff                               // 00000000AF6C: 8652FF52 00FFFFFF
	s_cmp_lt_u32 s82, s66                                      // 00000000AF74: BF0A4252
	s_cselect_b32 s21, s36, s60                                // 00000000AF78: 85153C24
	s_mov_b64 exec, s[20:21]                                   // 00000000AF7C: BEFE0114
	global_atomic_add_f32 v6, v97, s[8:9]                      // 00000000AF80: DD348000 00086106
	s_mov_b64 exec, s[36:37]                                   // 00000000AF88: BEFE0124
	v_mov_b32_e32 v6, v72                                      // 00000000AF8C: 7E0C0348
	s_mov_b64 s[60:61], 0                                      // 00000000AF90: BEBC0180
	v_readlane_b32 s82, v3, 16                                 // 00000000AF94: D2890052 00012103
	s_and_b32 s82, s82, 0xffffff                               // 00000000AF9C: 8652FF52 00FFFFFF
	s_cmp_lt_u32 s82, s66                                      // 00000000AFA4: BF0A4252
	s_cselect_b32 s20, s36, s60                                // 00000000AFA8: 85143C24
	v_readlane_b32 s82, v3, 17                                 // 00000000AFAC: D2890052 00012303
	s_and_b32 s82, s82, 0xffffff                               // 00000000AFB4: 8652FF52 00FFFFFF
	s_cmp_lt_u32 s82, s66                                      // 00000000AFBC: BF0A4252
	s_cselect_b32 s21, s36, s60                                // 00000000AFC0: 85153C24
	s_mov_b64 exec, s[20:21]                                   // 00000000AFC4: BEFE0114
	global_atomic_add_f32 v6, v100, s[8:9]                     // 00000000AFC8: DD348000 00086406
	s_mov_b64 exec, s[36:37]                                   // 00000000AFD0: BEFE0124
	v_mov_b32_e32 v6, v73                                      // 00000000AFD4: 7E0C0349
	s_mov_b64 s[60:61], 0                                      // 00000000AFD8: BEBC0180
	v_readlane_b32 s82, v3, 18                                 // 00000000AFDC: D2890052 00012503
	s_and_b32 s82, s82, 0xffffff                               // 00000000AFE4: 8652FF52 00FFFFFF
	s_cmp_lt_u32 s82, s66                                      // 00000000AFEC: BF0A4252
	s_cselect_b32 s20, s36, s60                                // 00000000AFF0: 85143C24
	v_readlane_b32 s82, v3, 19                                 // 00000000AFF4: D2890052 00012703
	s_and_b32 s82, s82, 0xffffff                               // 00000000AFFC: 8652FF52 00FFFFFF
	s_cmp_lt_u32 s82, s66                                      // 00000000B004: BF0A4252
	s_cselect_b32 s21, s36, s60                                // 00000000B008: 85153C24
	s_mov_b64 exec, s[20:21]                                   // 00000000B00C: BEFE0114
	global_atomic_add_f32 v6, v101, s[8:9]                     // 00000000B010: DD348000 00086506
	s_mov_b64 exec, s[36:37]                                   // 00000000B018: BEFE0124
	v_mov_b32_e32 v6, v74                                      // 00000000B01C: 7E0C034A
	s_mov_b64 s[60:61], 0                                      // 00000000B020: BEBC0180
	v_readlane_b32 s82, v3, 20                                 // 00000000B024: D2890052 00012903
	s_and_b32 s82, s82, 0xffffff                               // 00000000B02C: 8652FF52 00FFFFFF
	s_cmp_lt_u32 s82, s66                                      // 00000000B034: BF0A4252
	s_cselect_b32 s20, s36, s60                                // 00000000B038: 85143C24
	v_readlane_b32 s82, v3, 21                                 // 00000000B03C: D2890052 00012B03
	s_and_b32 s82, s82, 0xffffff                               // 00000000B044: 8652FF52 00FFFFFF
	s_cmp_lt_u32 s82, s66                                      // 00000000B04C: BF0A4252
	s_cselect_b32 s21, s36, s60                                // 00000000B050: 85153C24
	s_mov_b64 exec, s[20:21]                                   // 00000000B054: BEFE0114
	global_atomic_add_f32 v6, v104, s[8:9]                     // 00000000B058: DD348000 00086806
	s_mov_b64 exec, s[36:37]                                   // 00000000B060: BEFE0124
	v_mov_b32_e32 v6, v75                                      // 00000000B064: 7E0C034B
	s_mov_b64 s[60:61], 0                                      // 00000000B068: BEBC0180
	v_readlane_b32 s82, v3, 22                                 // 00000000B06C: D2890052 00012D03
	s_and_b32 s82, s82, 0xffffff                               // 00000000B074: 8652FF52 00FFFFFF
	s_cmp_lt_u32 s82, s66                                      // 00000000B07C: BF0A4252
	s_cselect_b32 s20, s36, s60                                // 00000000B080: 85143C24
	v_readlane_b32 s82, v3, 23                                 // 00000000B084: D2890052 00012F03
	s_and_b32 s82, s82, 0xffffff                               // 00000000B08C: 8652FF52 00FFFFFF
	s_cmp_lt_u32 s82, s66                                      // 00000000B094: BF0A4252
	s_cselect_b32 s21, s36, s60                                // 00000000B098: 85153C24
	s_mov_b64 exec, s[20:21]                                   // 00000000B09C: BEFE0114
	global_atomic_add_f32 v6, v105, s[8:9]                     // 00000000B0A0: DD348000 00086906
	s_mov_b64 exec, s[36:37]                                   // 00000000B0A8: BEFE0124
	v_mov_b32_e32 v6, v76                                      // 00000000B0AC: 7E0C034C
	s_mov_b64 s[60:61], 0                                      // 00000000B0B0: BEBC0180
	v_readlane_b32 s82, v3, 24                                 // 00000000B0B4: D2890052 00013103
	s_and_b32 s82, s82, 0xffffff                               // 00000000B0BC: 8652FF52 00FFFFFF
	s_cmp_lt_u32 s82, s66                                      // 00000000B0C4: BF0A4252
	s_cselect_b32 s20, s36, s60                                // 00000000B0C8: 85143C24
	v_readlane_b32 s82, v3, 25                                 // 00000000B0CC: D2890052 00013303
	s_and_b32 s82, s82, 0xffffff                               // 00000000B0D4: 8652FF52 00FFFFFF
	s_cmp_lt_u32 s82, s66                                      // 00000000B0DC: BF0A4252
	s_cselect_b32 s21, s36, s60                                // 00000000B0E0: 85153C24
	s_mov_b64 exec, s[20:21]                                   // 00000000B0E4: BEFE0114
	global_atomic_add_f32 v6, v108, s[8:9]                     // 00000000B0E8: DD348000 00086C06
	s_mov_b64 exec, s[36:37]                                   // 00000000B0F0: BEFE0124
	v_mov_b32_e32 v6, v77                                      // 00000000B0F4: 7E0C034D
	s_mov_b64 s[60:61], 0                                      // 00000000B0F8: BEBC0180
	v_readlane_b32 s82, v3, 26                                 // 00000000B0FC: D2890052 00013503
	s_and_b32 s82, s82, 0xffffff                               // 00000000B104: 8652FF52 00FFFFFF
	s_cmp_lt_u32 s82, s66                                      // 00000000B10C: BF0A4252
	s_cselect_b32 s20, s36, s60                                // 00000000B110: 85143C24
	v_readlane_b32 s82, v3, 27                                 // 00000000B114: D2890052 00013703
	s_and_b32 s82, s82, 0xffffff                               // 00000000B11C: 8652FF52 00FFFFFF
	s_cmp_lt_u32 s82, s66                                      // 00000000B124: BF0A4252
	s_cselect_b32 s21, s36, s60                                // 00000000B128: 85153C24
	s_mov_b64 exec, s[20:21]                                   // 00000000B12C: BEFE0114
	global_atomic_add_f32 v6, v109, s[8:9]                     // 00000000B130: DD348000 00086D06
	s_mov_b64 exec, s[36:37]                                   // 00000000B138: BEFE0124
	v_mov_b32_e32 v6, v78                                      // 00000000B13C: 7E0C034E
	s_mov_b64 s[60:61], 0                                      // 00000000B140: BEBC0180
	v_readlane_b32 s82, v3, 28                                 // 00000000B144: D2890052 00013903
	s_and_b32 s82, s82, 0xffffff                               // 00000000B14C: 8652FF52 00FFFFFF
	s_cmp_lt_u32 s82, s66                                      // 00000000B154: BF0A4252
	s_cselect_b32 s20, s36, s60                                // 00000000B158: 85143C24
	v_readlane_b32 s82, v3, 29                                 // 00000000B15C: D2890052 00013B03
	s_and_b32 s82, s82, 0xffffff                               // 00000000B164: 8652FF52 00FFFFFF
	s_cmp_lt_u32 s82, s66                                      // 00000000B16C: BF0A4252
	s_cselect_b32 s21, s36, s60                                // 00000000B170: 85153C24
	s_mov_b64 exec, s[20:21]                                   // 00000000B174: BEFE0114
	global_atomic_add_f32 v6, v112, s[8:9]                     // 00000000B178: DD348000 00087006
	s_mov_b64 exec, s[36:37]                                   // 00000000B180: BEFE0124
	v_mov_b32_e32 v6, v79                                      // 00000000B184: 7E0C034F
	s_mov_b64 s[60:61], 0                                      // 00000000B188: BEBC0180
	v_readlane_b32 s82, v3, 30                                 // 00000000B18C: D2890052 00013D03
	s_and_b32 s82, s82, 0xffffff                               // 00000000B194: 8652FF52 00FFFFFF
	s_cmp_lt_u32 s82, s66                                      // 00000000B19C: BF0A4252
	s_cselect_b32 s20, s36, s60                                // 00000000B1A0: 85143C24
	v_readlane_b32 s82, v3, 31                                 // 00000000B1A4: D2890052 00013F03
	s_and_b32 s82, s82, 0xffffff                               // 00000000B1AC: 8652FF52 00FFFFFF
	s_cmp_lt_u32 s82, s66                                      // 00000000B1B4: BF0A4252
	s_cselect_b32 s21, s36, s60                                // 00000000B1B8: 85153C24
	s_mov_b64 exec, s[20:21]                                   // 00000000B1BC: BEFE0114
	global_atomic_add_f32 v6, v113, s[8:9]                     // 00000000B1C0: DD348000 00087106
	s_mov_b64 exec, s[36:37]                                   // 00000000B1C8: BEFE0124
	v_mov_b32_e32 v6, v80                                      // 00000000B1CC: 7E0C0350
	s_mov_b64 s[60:61], 0                                      // 00000000B1D0: BEBC0180
	v_readlane_b32 s82, v3, 32                                 // 00000000B1D4: D2890052 00014103
	s_and_b32 s82, s82, 0xffffff                               // 00000000B1DC: 8652FF52 00FFFFFF
	s_cmp_lt_u32 s82, s66                                      // 00000000B1E4: BF0A4252
	s_cselect_b32 s20, s36, s60                                // 00000000B1E8: 85143C24
	v_readlane_b32 s82, v3, 33                                 // 00000000B1EC: D2890052 00014303
	s_and_b32 s82, s82, 0xffffff                               // 00000000B1F4: 8652FF52 00FFFFFF
	s_cmp_lt_u32 s82, s66                                      // 00000000B1FC: BF0A4252
	s_cselect_b32 s21, s36, s60                                // 00000000B200: 85153C24
	s_mov_b64 exec, s[20:21]                                   // 00000000B204: BEFE0114
	global_atomic_add_f32 v6, v116, s[8:9]                     // 00000000B208: DD348000 00087406
	s_mov_b64 exec, s[36:37]                                   // 00000000B210: BEFE0124
	v_mov_b32_e32 v6, v81                                      // 00000000B214: 7E0C0351
	s_mov_b64 s[60:61], 0                                      // 00000000B218: BEBC0180
	v_readlane_b32 s82, v3, 34                                 // 00000000B21C: D2890052 00014503
	s_and_b32 s82, s82, 0xffffff                               // 00000000B224: 8652FF52 00FFFFFF
	s_cmp_lt_u32 s82, s66                                      // 00000000B22C: BF0A4252
	s_cselect_b32 s20, s36, s60                                // 00000000B230: 85143C24
	v_readlane_b32 s82, v3, 35                                 // 00000000B234: D2890052 00014703
	s_and_b32 s82, s82, 0xffffff                               // 00000000B23C: 8652FF52 00FFFFFF
	s_cmp_lt_u32 s82, s66                                      // 00000000B244: BF0A4252
	s_cselect_b32 s21, s36, s60                                // 00000000B248: 85153C24
	s_mov_b64 exec, s[20:21]                                   // 00000000B24C: BEFE0114
	global_atomic_add_f32 v6, v117, s[8:9]                     // 00000000B250: DD348000 00087506
	s_mov_b64 exec, s[36:37]                                   // 00000000B258: BEFE0124
	ds_write_b64 v20, v[86:87]                                 // 00000000B25C: D89A0000 00005614
	ds_write_b64 v20, v[90:91] offset:2176                     // 00000000B264: D89A0880 00005A14
	ds_write_b64 v20, v[94:95] offset:4352                     // 00000000B26C: D89A1100 00005E14
	ds_write_b64 v20, v[98:99] offset:6528                     // 00000000B274: D89A1980 00006214
	ds_write_b64 v20, v[102:103] offset:8704                   // 00000000B27C: D89A2200 00006614
	ds_write_b64 v20, v[106:107] offset:10880                  // 00000000B284: D89A2A80 00006A14
	ds_write_b64 v20, v[110:111] offset:13056                  // 00000000B28C: D89A3300 00006E14
	ds_write_b64 v20, v[114:115] offset:15232                  // 00000000B294: D89A3B80 00007214
	ds_write_b64 v20, v[118:119] offset:17408                  // 00000000B29C: D89A4400 00007614
	s_waitcnt lgkmcnt(0)                                       // 00000000B2A4: BF8CC07F
	s_barrier                                                  // 00000000B2A8: BF8A0000
	ds_read_b32 v86, v21                                       // 00000000B2AC: D86C0000 56000015
	ds_read_b32 v87, v21 offset:64                             // 00000000B2B4: D86C0040 57000015
	ds_read_b32 v90, v21 offset:2176                           // 00000000B2BC: D86C0880 5A000015
	ds_read_b32 v91, v21 offset:2240                           // 00000000B2C4: D86C08C0 5B000015
	ds_read_b32 v94, v21 offset:4352                           // 00000000B2CC: D86C1100 5E000015
	ds_read_b32 v95, v21 offset:4416                           // 00000000B2D4: D86C1140 5F000015
	ds_read_b32 v98, v21 offset:6528                           // 00000000B2DC: D86C1980 62000015
	ds_read_b32 v99, v21 offset:6592                           // 00000000B2E4: D86C19C0 63000015
	ds_read_b32 v102, v21 offset:8704                          // 00000000B2EC: D86C2200 66000015
	ds_read_b32 v103, v21 offset:8768                          // 00000000B2F4: D86C2240 67000015
	ds_read_b32 v106, v21 offset:10880                         // 00000000B2FC: D86C2A80 6A000015
	ds_read_b32 v107, v21 offset:10944                         // 00000000B304: D86C2AC0 6B000015
	ds_read_b32 v110, v21 offset:13056                         // 00000000B30C: D86C3300 6E000015
	ds_read_b32 v111, v21 offset:13120                         // 00000000B314: D86C3340 6F000015
	ds_read_b32 v114, v21 offset:15232                         // 00000000B31C: D86C3B80 72000015
	ds_read_b32 v115, v21 offset:15296                         // 00000000B324: D86C3BC0 73000015
	ds_read_b32 v118, v21 offset:17408                         // 00000000B32C: D86C4400 76000015
	ds_read_b32 v119, v21 offset:17472                         // 00000000B334: D86C4440 77000015
	s_waitcnt lgkmcnt(0)                                       // 00000000B33C: BF8CC07F
	v_mov_b32_e32 v7, 0                                        // 00000000B340: 7E0E0280
	s_mov_b64 exec, s[36:37]                                   // 00000000B344: BEFE0124
	v_mov_b32_e32 v6, v64                                      // 00000000B348: 7E0C0340
	s_mov_b64 s[60:61], 0                                      // 00000000B34C: BEBC0180
	v_readlane_b32 s82, v3, 0                                  // 00000000B350: D2890052 00010103
	s_and_b32 s82, s82, 0xffffff                               // 00000000B358: 8652FF52 00FFFFFF
	s_cmp_lt_u32 s82, s66                                      // 00000000B360: BF0A4252
	s_cselect_b32 s20, s36, s60                                // 00000000B364: 85143C24
	v_readlane_b32 s82, v3, 1                                  // 00000000B368: D2890052 00010303
	s_and_b32 s82, s82, 0xffffff                               // 00000000B370: 8652FF52 00FFFFFF
	s_cmp_lt_u32 s82, s66                                      // 00000000B378: BF0A4252
	s_cselect_b32 s21, s36, s60                                // 00000000B37C: 85153C24
	s_mov_b64 exec, s[20:21]                                   // 00000000B380: BEFE0114
	global_atomic_add_f32 v6, v86, s[8:9] offset:8             // 00000000B384: DD348008 00085606
	s_mov_b64 exec, s[36:37]                                   // 00000000B38C: BEFE0124
	v_mov_b32_e32 v6, v65                                      // 00000000B390: 7E0C0341
	s_mov_b64 s[60:61], 0                                      // 00000000B394: BEBC0180
	v_readlane_b32 s82, v3, 2                                  // 00000000B398: D2890052 00010503
	s_and_b32 s82, s82, 0xffffff                               // 00000000B3A0: 8652FF52 00FFFFFF
	s_cmp_lt_u32 s82, s66                                      // 00000000B3A8: BF0A4252
	s_cselect_b32 s20, s36, s60                                // 00000000B3AC: 85143C24
	v_readlane_b32 s82, v3, 3                                  // 00000000B3B0: D2890052 00010703
	s_and_b32 s82, s82, 0xffffff                               // 00000000B3B8: 8652FF52 00FFFFFF
	s_cmp_lt_u32 s82, s66                                      // 00000000B3C0: BF0A4252
	s_cselect_b32 s21, s36, s60                                // 00000000B3C4: 85153C24
	s_mov_b64 exec, s[20:21]                                   // 00000000B3C8: BEFE0114
	global_atomic_add_f32 v6, v87, s[8:9] offset:8             // 00000000B3CC: DD348008 00085706
	s_mov_b64 exec, s[36:37]                                   // 00000000B3D4: BEFE0124
	v_mov_b32_e32 v6, v66                                      // 00000000B3D8: 7E0C0342
	s_mov_b64 s[60:61], 0                                      // 00000000B3DC: BEBC0180
	v_readlane_b32 s82, v3, 4                                  // 00000000B3E0: D2890052 00010903
	s_and_b32 s82, s82, 0xffffff                               // 00000000B3E8: 8652FF52 00FFFFFF
	s_cmp_lt_u32 s82, s66                                      // 00000000B3F0: BF0A4252
	s_cselect_b32 s20, s36, s60                                // 00000000B3F4: 85143C24
	v_readlane_b32 s82, v3, 5                                  // 00000000B3F8: D2890052 00010B03
	s_and_b32 s82, s82, 0xffffff                               // 00000000B400: 8652FF52 00FFFFFF
	s_cmp_lt_u32 s82, s66                                      // 00000000B408: BF0A4252
	s_cselect_b32 s21, s36, s60                                // 00000000B40C: 85153C24
	s_mov_b64 exec, s[20:21]                                   // 00000000B410: BEFE0114
	global_atomic_add_f32 v6, v90, s[8:9] offset:8             // 00000000B414: DD348008 00085A06
	s_mov_b64 exec, s[36:37]                                   // 00000000B41C: BEFE0124
	v_mov_b32_e32 v6, v67                                      // 00000000B420: 7E0C0343
	s_mov_b64 s[60:61], 0                                      // 00000000B424: BEBC0180
	v_readlane_b32 s82, v3, 6                                  // 00000000B428: D2890052 00010D03
	s_and_b32 s82, s82, 0xffffff                               // 00000000B430: 8652FF52 00FFFFFF
	s_cmp_lt_u32 s82, s66                                      // 00000000B438: BF0A4252
	s_cselect_b32 s20, s36, s60                                // 00000000B43C: 85143C24
	v_readlane_b32 s82, v3, 7                                  // 00000000B440: D2890052 00010F03
	s_and_b32 s82, s82, 0xffffff                               // 00000000B448: 8652FF52 00FFFFFF
	s_cmp_lt_u32 s82, s66                                      // 00000000B450: BF0A4252
	s_cselect_b32 s21, s36, s60                                // 00000000B454: 85153C24
	s_mov_b64 exec, s[20:21]                                   // 00000000B458: BEFE0114
	global_atomic_add_f32 v6, v91, s[8:9] offset:8             // 00000000B45C: DD348008 00085B06
	s_mov_b64 exec, s[36:37]                                   // 00000000B464: BEFE0124
	v_mov_b32_e32 v6, v68                                      // 00000000B468: 7E0C0344
	s_mov_b64 s[60:61], 0                                      // 00000000B46C: BEBC0180
	v_readlane_b32 s82, v3, 8                                  // 00000000B470: D2890052 00011103
	s_and_b32 s82, s82, 0xffffff                               // 00000000B478: 8652FF52 00FFFFFF
	s_cmp_lt_u32 s82, s66                                      // 00000000B480: BF0A4252
	s_cselect_b32 s20, s36, s60                                // 00000000B484: 85143C24
	v_readlane_b32 s82, v3, 9                                  // 00000000B488: D2890052 00011303
	s_and_b32 s82, s82, 0xffffff                               // 00000000B490: 8652FF52 00FFFFFF
	s_cmp_lt_u32 s82, s66                                      // 00000000B498: BF0A4252
	s_cselect_b32 s21, s36, s60                                // 00000000B49C: 85153C24
	s_mov_b64 exec, s[20:21]                                   // 00000000B4A0: BEFE0114
	global_atomic_add_f32 v6, v94, s[8:9] offset:8             // 00000000B4A4: DD348008 00085E06
	s_mov_b64 exec, s[36:37]                                   // 00000000B4AC: BEFE0124
	v_mov_b32_e32 v6, v69                                      // 00000000B4B0: 7E0C0345
	s_mov_b64 s[60:61], 0                                      // 00000000B4B4: BEBC0180
	v_readlane_b32 s82, v3, 10                                 // 00000000B4B8: D2890052 00011503
	s_and_b32 s82, s82, 0xffffff                               // 00000000B4C0: 8652FF52 00FFFFFF
	s_cmp_lt_u32 s82, s66                                      // 00000000B4C8: BF0A4252
	s_cselect_b32 s20, s36, s60                                // 00000000B4CC: 85143C24
	v_readlane_b32 s82, v3, 11                                 // 00000000B4D0: D2890052 00011703
	s_and_b32 s82, s82, 0xffffff                               // 00000000B4D8: 8652FF52 00FFFFFF
	s_cmp_lt_u32 s82, s66                                      // 00000000B4E0: BF0A4252
	s_cselect_b32 s21, s36, s60                                // 00000000B4E4: 85153C24
	s_mov_b64 exec, s[20:21]                                   // 00000000B4E8: BEFE0114
	global_atomic_add_f32 v6, v95, s[8:9] offset:8             // 00000000B4EC: DD348008 00085F06
	s_mov_b64 exec, s[36:37]                                   // 00000000B4F4: BEFE0124
	v_mov_b32_e32 v6, v70                                      // 00000000B4F8: 7E0C0346
	s_mov_b64 s[60:61], 0                                      // 00000000B4FC: BEBC0180
	v_readlane_b32 s82, v3, 12                                 // 00000000B500: D2890052 00011903
	s_and_b32 s82, s82, 0xffffff                               // 00000000B508: 8652FF52 00FFFFFF
	s_cmp_lt_u32 s82, s66                                      // 00000000B510: BF0A4252
	s_cselect_b32 s20, s36, s60                                // 00000000B514: 85143C24
	v_readlane_b32 s82, v3, 13                                 // 00000000B518: D2890052 00011B03
	s_and_b32 s82, s82, 0xffffff                               // 00000000B520: 8652FF52 00FFFFFF
	s_cmp_lt_u32 s82, s66                                      // 00000000B528: BF0A4252
	s_cselect_b32 s21, s36, s60                                // 00000000B52C: 85153C24
	s_mov_b64 exec, s[20:21]                                   // 00000000B530: BEFE0114
	global_atomic_add_f32 v6, v98, s[8:9] offset:8             // 00000000B534: DD348008 00086206
	s_mov_b64 exec, s[36:37]                                   // 00000000B53C: BEFE0124
	v_mov_b32_e32 v6, v71                                      // 00000000B540: 7E0C0347
	s_mov_b64 s[60:61], 0                                      // 00000000B544: BEBC0180
	v_readlane_b32 s82, v3, 14                                 // 00000000B548: D2890052 00011D03
	s_and_b32 s82, s82, 0xffffff                               // 00000000B550: 8652FF52 00FFFFFF
	s_cmp_lt_u32 s82, s66                                      // 00000000B558: BF0A4252
	s_cselect_b32 s20, s36, s60                                // 00000000B55C: 85143C24
	v_readlane_b32 s82, v3, 15                                 // 00000000B560: D2890052 00011F03
	s_and_b32 s82, s82, 0xffffff                               // 00000000B568: 8652FF52 00FFFFFF
	s_cmp_lt_u32 s82, s66                                      // 00000000B570: BF0A4252
	s_cselect_b32 s21, s36, s60                                // 00000000B574: 85153C24
	s_mov_b64 exec, s[20:21]                                   // 00000000B578: BEFE0114
	global_atomic_add_f32 v6, v99, s[8:9] offset:8             // 00000000B57C: DD348008 00086306
	s_mov_b64 exec, s[36:37]                                   // 00000000B584: BEFE0124
	v_mov_b32_e32 v6, v72                                      // 00000000B588: 7E0C0348
	s_mov_b64 s[60:61], 0                                      // 00000000B58C: BEBC0180
	v_readlane_b32 s82, v3, 16                                 // 00000000B590: D2890052 00012103
	s_and_b32 s82, s82, 0xffffff                               // 00000000B598: 8652FF52 00FFFFFF
	s_cmp_lt_u32 s82, s66                                      // 00000000B5A0: BF0A4252
	s_cselect_b32 s20, s36, s60                                // 00000000B5A4: 85143C24
	v_readlane_b32 s82, v3, 17                                 // 00000000B5A8: D2890052 00012303
	s_and_b32 s82, s82, 0xffffff                               // 00000000B5B0: 8652FF52 00FFFFFF
	s_cmp_lt_u32 s82, s66                                      // 00000000B5B8: BF0A4252
	s_cselect_b32 s21, s36, s60                                // 00000000B5BC: 85153C24
	s_mov_b64 exec, s[20:21]                                   // 00000000B5C0: BEFE0114
	global_atomic_add_f32 v6, v102, s[8:9] offset:8            // 00000000B5C4: DD348008 00086606
	s_mov_b64 exec, s[36:37]                                   // 00000000B5CC: BEFE0124
	v_mov_b32_e32 v6, v73                                      // 00000000B5D0: 7E0C0349
	s_mov_b64 s[60:61], 0                                      // 00000000B5D4: BEBC0180
	v_readlane_b32 s82, v3, 18                                 // 00000000B5D8: D2890052 00012503
	s_and_b32 s82, s82, 0xffffff                               // 00000000B5E0: 8652FF52 00FFFFFF
	s_cmp_lt_u32 s82, s66                                      // 00000000B5E8: BF0A4252
	s_cselect_b32 s20, s36, s60                                // 00000000B5EC: 85143C24
	v_readlane_b32 s82, v3, 19                                 // 00000000B5F0: D2890052 00012703
	s_and_b32 s82, s82, 0xffffff                               // 00000000B5F8: 8652FF52 00FFFFFF
	s_cmp_lt_u32 s82, s66                                      // 00000000B600: BF0A4252
	s_cselect_b32 s21, s36, s60                                // 00000000B604: 85153C24
	s_mov_b64 exec, s[20:21]                                   // 00000000B608: BEFE0114
	global_atomic_add_f32 v6, v103, s[8:9] offset:8            // 00000000B60C: DD348008 00086706
	s_mov_b64 exec, s[36:37]                                   // 00000000B614: BEFE0124
	v_mov_b32_e32 v6, v74                                      // 00000000B618: 7E0C034A
	s_mov_b64 s[60:61], 0                                      // 00000000B61C: BEBC0180
	v_readlane_b32 s82, v3, 20                                 // 00000000B620: D2890052 00012903
	s_and_b32 s82, s82, 0xffffff                               // 00000000B628: 8652FF52 00FFFFFF
	s_cmp_lt_u32 s82, s66                                      // 00000000B630: BF0A4252
	s_cselect_b32 s20, s36, s60                                // 00000000B634: 85143C24
	v_readlane_b32 s82, v3, 21                                 // 00000000B638: D2890052 00012B03
	s_and_b32 s82, s82, 0xffffff                               // 00000000B640: 8652FF52 00FFFFFF
	s_cmp_lt_u32 s82, s66                                      // 00000000B648: BF0A4252
	s_cselect_b32 s21, s36, s60                                // 00000000B64C: 85153C24
	s_mov_b64 exec, s[20:21]                                   // 00000000B650: BEFE0114
	global_atomic_add_f32 v6, v106, s[8:9] offset:8            // 00000000B654: DD348008 00086A06
	s_mov_b64 exec, s[36:37]                                   // 00000000B65C: BEFE0124
	v_mov_b32_e32 v6, v75                                      // 00000000B660: 7E0C034B
	s_mov_b64 s[60:61], 0                                      // 00000000B664: BEBC0180
	v_readlane_b32 s82, v3, 22                                 // 00000000B668: D2890052 00012D03
	s_and_b32 s82, s82, 0xffffff                               // 00000000B670: 8652FF52 00FFFFFF
	s_cmp_lt_u32 s82, s66                                      // 00000000B678: BF0A4252
	s_cselect_b32 s20, s36, s60                                // 00000000B67C: 85143C24
	v_readlane_b32 s82, v3, 23                                 // 00000000B680: D2890052 00012F03
	s_and_b32 s82, s82, 0xffffff                               // 00000000B688: 8652FF52 00FFFFFF
	s_cmp_lt_u32 s82, s66                                      // 00000000B690: BF0A4252
	s_cselect_b32 s21, s36, s60                                // 00000000B694: 85153C24
	s_mov_b64 exec, s[20:21]                                   // 00000000B698: BEFE0114
	global_atomic_add_f32 v6, v107, s[8:9] offset:8            // 00000000B69C: DD348008 00086B06
	s_mov_b64 exec, s[36:37]                                   // 00000000B6A4: BEFE0124
	v_mov_b32_e32 v6, v76                                      // 00000000B6A8: 7E0C034C
	s_mov_b64 s[60:61], 0                                      // 00000000B6AC: BEBC0180
	v_readlane_b32 s82, v3, 24                                 // 00000000B6B0: D2890052 00013103
	s_and_b32 s82, s82, 0xffffff                               // 00000000B6B8: 8652FF52 00FFFFFF
	s_cmp_lt_u32 s82, s66                                      // 00000000B6C0: BF0A4252
	s_cselect_b32 s20, s36, s60                                // 00000000B6C4: 85143C24
	v_readlane_b32 s82, v3, 25                                 // 00000000B6C8: D2890052 00013303
	s_and_b32 s82, s82, 0xffffff                               // 00000000B6D0: 8652FF52 00FFFFFF
	s_cmp_lt_u32 s82, s66                                      // 00000000B6D8: BF0A4252
	s_cselect_b32 s21, s36, s60                                // 00000000B6DC: 85153C24
	s_mov_b64 exec, s[20:21]                                   // 00000000B6E0: BEFE0114
	global_atomic_add_f32 v6, v110, s[8:9] offset:8            // 00000000B6E4: DD348008 00086E06
	s_mov_b64 exec, s[36:37]                                   // 00000000B6EC: BEFE0124
	v_mov_b32_e32 v6, v77                                      // 00000000B6F0: 7E0C034D
	s_mov_b64 s[60:61], 0                                      // 00000000B6F4: BEBC0180
	v_readlane_b32 s82, v3, 26                                 // 00000000B6F8: D2890052 00013503
	s_and_b32 s82, s82, 0xffffff                               // 00000000B700: 8652FF52 00FFFFFF
	s_cmp_lt_u32 s82, s66                                      // 00000000B708: BF0A4252
	s_cselect_b32 s20, s36, s60                                // 00000000B70C: 85143C24
	v_readlane_b32 s82, v3, 27                                 // 00000000B710: D2890052 00013703
	s_and_b32 s82, s82, 0xffffff                               // 00000000B718: 8652FF52 00FFFFFF
	s_cmp_lt_u32 s82, s66                                      // 00000000B720: BF0A4252
	s_cselect_b32 s21, s36, s60                                // 00000000B724: 85153C24
	s_mov_b64 exec, s[20:21]                                   // 00000000B728: BEFE0114
	global_atomic_add_f32 v6, v111, s[8:9] offset:8            // 00000000B72C: DD348008 00086F06
	s_mov_b64 exec, s[36:37]                                   // 00000000B734: BEFE0124
	v_mov_b32_e32 v6, v78                                      // 00000000B738: 7E0C034E
	s_mov_b64 s[60:61], 0                                      // 00000000B73C: BEBC0180
	v_readlane_b32 s82, v3, 28                                 // 00000000B740: D2890052 00013903
	s_and_b32 s82, s82, 0xffffff                               // 00000000B748: 8652FF52 00FFFFFF
	s_cmp_lt_u32 s82, s66                                      // 00000000B750: BF0A4252
	s_cselect_b32 s20, s36, s60                                // 00000000B754: 85143C24
	v_readlane_b32 s82, v3, 29                                 // 00000000B758: D2890052 00013B03
	s_and_b32 s82, s82, 0xffffff                               // 00000000B760: 8652FF52 00FFFFFF
	s_cmp_lt_u32 s82, s66                                      // 00000000B768: BF0A4252
	s_cselect_b32 s21, s36, s60                                // 00000000B76C: 85153C24
	s_mov_b64 exec, s[20:21]                                   // 00000000B770: BEFE0114
	global_atomic_add_f32 v6, v114, s[8:9] offset:8            // 00000000B774: DD348008 00087206
	s_mov_b64 exec, s[36:37]                                   // 00000000B77C: BEFE0124
	v_mov_b32_e32 v6, v79                                      // 00000000B780: 7E0C034F
	s_mov_b64 s[60:61], 0                                      // 00000000B784: BEBC0180
	v_readlane_b32 s82, v3, 30                                 // 00000000B788: D2890052 00013D03
	s_and_b32 s82, s82, 0xffffff                               // 00000000B790: 8652FF52 00FFFFFF
	s_cmp_lt_u32 s82, s66                                      // 00000000B798: BF0A4252
	s_cselect_b32 s20, s36, s60                                // 00000000B79C: 85143C24
	v_readlane_b32 s82, v3, 31                                 // 00000000B7A0: D2890052 00013F03
	s_and_b32 s82, s82, 0xffffff                               // 00000000B7A8: 8652FF52 00FFFFFF
	s_cmp_lt_u32 s82, s66                                      // 00000000B7B0: BF0A4252
	s_cselect_b32 s21, s36, s60                                // 00000000B7B4: 85153C24
	s_mov_b64 exec, s[20:21]                                   // 00000000B7B8: BEFE0114
	global_atomic_add_f32 v6, v115, s[8:9] offset:8            // 00000000B7BC: DD348008 00087306
	s_mov_b64 exec, s[36:37]                                   // 00000000B7C4: BEFE0124
	v_mov_b32_e32 v6, v80                                      // 00000000B7C8: 7E0C0350
	s_mov_b64 s[60:61], 0                                      // 00000000B7CC: BEBC0180
	v_readlane_b32 s82, v3, 32                                 // 00000000B7D0: D2890052 00014103
	s_and_b32 s82, s82, 0xffffff                               // 00000000B7D8: 8652FF52 00FFFFFF
	s_cmp_lt_u32 s82, s66                                      // 00000000B7E0: BF0A4252
	s_cselect_b32 s20, s36, s60                                // 00000000B7E4: 85143C24
	v_readlane_b32 s82, v3, 33                                 // 00000000B7E8: D2890052 00014303
	s_and_b32 s82, s82, 0xffffff                               // 00000000B7F0: 8652FF52 00FFFFFF
	s_cmp_lt_u32 s82, s66                                      // 00000000B7F8: BF0A4252
	s_cselect_b32 s21, s36, s60                                // 00000000B7FC: 85153C24
	s_mov_b64 exec, s[20:21]                                   // 00000000B800: BEFE0114
	global_atomic_add_f32 v6, v118, s[8:9] offset:8            // 00000000B804: DD348008 00087606
	s_mov_b64 exec, s[36:37]                                   // 00000000B80C: BEFE0124
	v_mov_b32_e32 v6, v81                                      // 00000000B810: 7E0C0351
	s_mov_b64 s[60:61], 0                                      // 00000000B814: BEBC0180
	v_readlane_b32 s82, v3, 34                                 // 00000000B818: D2890052 00014503
	s_and_b32 s82, s82, 0xffffff                               // 00000000B820: 8652FF52 00FFFFFF
	s_cmp_lt_u32 s82, s66                                      // 00000000B828: BF0A4252
	s_cselect_b32 s20, s36, s60                                // 00000000B82C: 85143C24
	v_readlane_b32 s82, v3, 35                                 // 00000000B830: D2890052 00014703
	s_and_b32 s82, s82, 0xffffff                               // 00000000B838: 8652FF52 00FFFFFF
	s_cmp_lt_u32 s82, s66                                      // 00000000B840: BF0A4252
	s_cselect_b32 s21, s36, s60                                // 00000000B844: 85153C24
	s_mov_b64 exec, s[20:21]                                   // 00000000B848: BEFE0114
	global_atomic_add_f32 v6, v119, s[8:9] offset:8            // 00000000B84C: DD348008 00087706
	s_mov_b64 exec, s[36:37]                                   // 00000000B854: BEFE0124
	ds_write_b64 v20, v[120:121]                               // 00000000B858: D89A0000 00007814
	ds_write_b64 v20, v[124:125] offset:2176                   // 00000000B860: D89A0880 00007C14
	ds_write_b64 v20, v[128:129] offset:4352                   // 00000000B868: D89A1100 00008014
	ds_write_b64 v20, v[132:133] offset:6528                   // 00000000B870: D89A1980 00008414
	ds_write_b64 v20, v[136:137] offset:8704                   // 00000000B878: D89A2200 00008814
	ds_write_b64 v20, v[140:141] offset:10880                  // 00000000B880: D89A2A80 00008C14
	ds_write_b64 v20, v[144:145] offset:13056                  // 00000000B888: D89A3300 00009014
	ds_write_b64 v20, v[148:149] offset:15232                  // 00000000B890: D89A3B80 00009414
	ds_write_b64 v20, v[152:153] offset:17408                  // 00000000B898: D89A4400 00009814
	s_waitcnt lgkmcnt(0)                                       // 00000000B8A0: BF8CC07F
	s_barrier                                                  // 00000000B8A4: BF8A0000
	ds_read_b32 v120, v21                                      // 00000000B8A8: D86C0000 78000015
	ds_read_b32 v121, v21 offset:64                            // 00000000B8B0: D86C0040 79000015
	ds_read_b32 v124, v21 offset:2176                          // 00000000B8B8: D86C0880 7C000015
	ds_read_b32 v125, v21 offset:2240                          // 00000000B8C0: D86C08C0 7D000015
	ds_read_b32 v128, v21 offset:4352                          // 00000000B8C8: D86C1100 80000015
	ds_read_b32 v129, v21 offset:4416                          // 00000000B8D0: D86C1140 81000015
	ds_read_b32 v132, v21 offset:6528                          // 00000000B8D8: D86C1980 84000015
	ds_read_b32 v133, v21 offset:6592                          // 00000000B8E0: D86C19C0 85000015
	ds_read_b32 v136, v21 offset:8704                          // 00000000B8E8: D86C2200 88000015
	ds_read_b32 v137, v21 offset:8768                          // 00000000B8F0: D86C2240 89000015
	ds_read_b32 v140, v21 offset:10880                         // 00000000B8F8: D86C2A80 8C000015
	ds_read_b32 v141, v21 offset:10944                         // 00000000B900: D86C2AC0 8D000015
	ds_read_b32 v144, v21 offset:13056                         // 00000000B908: D86C3300 90000015
	ds_read_b32 v145, v21 offset:13120                         // 00000000B910: D86C3340 91000015
	ds_read_b32 v148, v21 offset:15232                         // 00000000B918: D86C3B80 94000015
	ds_read_b32 v149, v21 offset:15296                         // 00000000B920: D86C3BC0 95000015
	ds_read_b32 v152, v21 offset:17408                         // 00000000B928: D86C4400 98000015
	ds_read_b32 v153, v21 offset:17472                         // 00000000B930: D86C4440 99000015
	s_mul_i32 s60, s65, 4                                      // 00000000B938: 923C8441
	s_add_u32 s8, s60, s8                                      // 00000000B93C: 8008083C
	s_addc_u32 s9, 0, s9                                       // 00000000B940: 82090980
	s_waitcnt lgkmcnt(0)                                       // 00000000B944: BF8CC07F
	v_mov_b32_e32 v7, 0                                        // 00000000B948: 7E0E0280
	s_mov_b64 exec, s[36:37]                                   // 00000000B94C: BEFE0124
	v_mov_b32_e32 v6, v64                                      // 00000000B950: 7E0C0340
	s_mov_b64 s[60:61], 0                                      // 00000000B954: BEBC0180
	v_readlane_b32 s82, v3, 0                                  // 00000000B958: D2890052 00010103
	s_and_b32 s82, s82, 0xffffff                               // 00000000B960: 8652FF52 00FFFFFF
	s_cmp_lt_u32 s82, s66                                      // 00000000B968: BF0A4252
	s_cselect_b32 s20, s36, s60                                // 00000000B96C: 85143C24
	v_readlane_b32 s82, v3, 1                                  // 00000000B970: D2890052 00010303
	s_and_b32 s82, s82, 0xffffff                               // 00000000B978: 8652FF52 00FFFFFF
	s_cmp_lt_u32 s82, s66                                      // 00000000B980: BF0A4252
	s_cselect_b32 s21, s36, s60                                // 00000000B984: 85153C24
	s_mov_b64 exec, s[20:21]                                   // 00000000B988: BEFE0114
	global_atomic_add_f32 v6, v120, s[8:9]                     // 00000000B98C: DD348000 00087806
	s_mov_b64 exec, s[36:37]                                   // 00000000B994: BEFE0124
	v_mov_b32_e32 v6, v65                                      // 00000000B998: 7E0C0341
	s_mov_b64 s[60:61], 0                                      // 00000000B99C: BEBC0180
	v_readlane_b32 s82, v3, 2                                  // 00000000B9A0: D2890052 00010503
	s_and_b32 s82, s82, 0xffffff                               // 00000000B9A8: 8652FF52 00FFFFFF
	s_cmp_lt_u32 s82, s66                                      // 00000000B9B0: BF0A4252
	s_cselect_b32 s20, s36, s60                                // 00000000B9B4: 85143C24
	v_readlane_b32 s82, v3, 3                                  // 00000000B9B8: D2890052 00010703
	s_and_b32 s82, s82, 0xffffff                               // 00000000B9C0: 8652FF52 00FFFFFF
	s_cmp_lt_u32 s82, s66                                      // 00000000B9C8: BF0A4252
	s_cselect_b32 s21, s36, s60                                // 00000000B9CC: 85153C24
	s_mov_b64 exec, s[20:21]                                   // 00000000B9D0: BEFE0114
	global_atomic_add_f32 v6, v121, s[8:9]                     // 00000000B9D4: DD348000 00087906
	s_mov_b64 exec, s[36:37]                                   // 00000000B9DC: BEFE0124
	v_mov_b32_e32 v6, v66                                      // 00000000B9E0: 7E0C0342
	s_mov_b64 s[60:61], 0                                      // 00000000B9E4: BEBC0180
	v_readlane_b32 s82, v3, 4                                  // 00000000B9E8: D2890052 00010903
	s_and_b32 s82, s82, 0xffffff                               // 00000000B9F0: 8652FF52 00FFFFFF
	s_cmp_lt_u32 s82, s66                                      // 00000000B9F8: BF0A4252
	s_cselect_b32 s20, s36, s60                                // 00000000B9FC: 85143C24
	v_readlane_b32 s82, v3, 5                                  // 00000000BA00: D2890052 00010B03
	s_and_b32 s82, s82, 0xffffff                               // 00000000BA08: 8652FF52 00FFFFFF
	s_cmp_lt_u32 s82, s66                                      // 00000000BA10: BF0A4252
	s_cselect_b32 s21, s36, s60                                // 00000000BA14: 85153C24
	s_mov_b64 exec, s[20:21]                                   // 00000000BA18: BEFE0114
	global_atomic_add_f32 v6, v124, s[8:9]                     // 00000000BA1C: DD348000 00087C06
	s_mov_b64 exec, s[36:37]                                   // 00000000BA24: BEFE0124
	v_mov_b32_e32 v6, v67                                      // 00000000BA28: 7E0C0343
	s_mov_b64 s[60:61], 0                                      // 00000000BA2C: BEBC0180
	v_readlane_b32 s82, v3, 6                                  // 00000000BA30: D2890052 00010D03
	s_and_b32 s82, s82, 0xffffff                               // 00000000BA38: 8652FF52 00FFFFFF
	s_cmp_lt_u32 s82, s66                                      // 00000000BA40: BF0A4252
	s_cselect_b32 s20, s36, s60                                // 00000000BA44: 85143C24
	v_readlane_b32 s82, v3, 7                                  // 00000000BA48: D2890052 00010F03
	s_and_b32 s82, s82, 0xffffff                               // 00000000BA50: 8652FF52 00FFFFFF
	s_cmp_lt_u32 s82, s66                                      // 00000000BA58: BF0A4252
	s_cselect_b32 s21, s36, s60                                // 00000000BA5C: 85153C24
	s_mov_b64 exec, s[20:21]                                   // 00000000BA60: BEFE0114
	global_atomic_add_f32 v6, v125, s[8:9]                     // 00000000BA64: DD348000 00087D06
	s_mov_b64 exec, s[36:37]                                   // 00000000BA6C: BEFE0124
	v_mov_b32_e32 v6, v68                                      // 00000000BA70: 7E0C0344
	s_mov_b64 s[60:61], 0                                      // 00000000BA74: BEBC0180
	v_readlane_b32 s82, v3, 8                                  // 00000000BA78: D2890052 00011103
	s_and_b32 s82, s82, 0xffffff                               // 00000000BA80: 8652FF52 00FFFFFF
	s_cmp_lt_u32 s82, s66                                      // 00000000BA88: BF0A4252
	s_cselect_b32 s20, s36, s60                                // 00000000BA8C: 85143C24
	v_readlane_b32 s82, v3, 9                                  // 00000000BA90: D2890052 00011303
	s_and_b32 s82, s82, 0xffffff                               // 00000000BA98: 8652FF52 00FFFFFF
	s_cmp_lt_u32 s82, s66                                      // 00000000BAA0: BF0A4252
	s_cselect_b32 s21, s36, s60                                // 00000000BAA4: 85153C24
	s_mov_b64 exec, s[20:21]                                   // 00000000BAA8: BEFE0114
	global_atomic_add_f32 v6, v128, s[8:9]                     // 00000000BAAC: DD348000 00088006
	s_mov_b64 exec, s[36:37]                                   // 00000000BAB4: BEFE0124
	v_mov_b32_e32 v6, v69                                      // 00000000BAB8: 7E0C0345
	s_mov_b64 s[60:61], 0                                      // 00000000BABC: BEBC0180
	v_readlane_b32 s82, v3, 10                                 // 00000000BAC0: D2890052 00011503
	s_and_b32 s82, s82, 0xffffff                               // 00000000BAC8: 8652FF52 00FFFFFF
	s_cmp_lt_u32 s82, s66                                      // 00000000BAD0: BF0A4252
	s_cselect_b32 s20, s36, s60                                // 00000000BAD4: 85143C24
	v_readlane_b32 s82, v3, 11                                 // 00000000BAD8: D2890052 00011703
	s_and_b32 s82, s82, 0xffffff                               // 00000000BAE0: 8652FF52 00FFFFFF
	s_cmp_lt_u32 s82, s66                                      // 00000000BAE8: BF0A4252
	s_cselect_b32 s21, s36, s60                                // 00000000BAEC: 85153C24
	s_mov_b64 exec, s[20:21]                                   // 00000000BAF0: BEFE0114
	global_atomic_add_f32 v6, v129, s[8:9]                     // 00000000BAF4: DD348000 00088106
	s_mov_b64 exec, s[36:37]                                   // 00000000BAFC: BEFE0124
	v_mov_b32_e32 v6, v70                                      // 00000000BB00: 7E0C0346
	s_mov_b64 s[60:61], 0                                      // 00000000BB04: BEBC0180
	v_readlane_b32 s82, v3, 12                                 // 00000000BB08: D2890052 00011903
	s_and_b32 s82, s82, 0xffffff                               // 00000000BB10: 8652FF52 00FFFFFF
	s_cmp_lt_u32 s82, s66                                      // 00000000BB18: BF0A4252
	s_cselect_b32 s20, s36, s60                                // 00000000BB1C: 85143C24
	v_readlane_b32 s82, v3, 13                                 // 00000000BB20: D2890052 00011B03
	s_and_b32 s82, s82, 0xffffff                               // 00000000BB28: 8652FF52 00FFFFFF
	s_cmp_lt_u32 s82, s66                                      // 00000000BB30: BF0A4252
	s_cselect_b32 s21, s36, s60                                // 00000000BB34: 85153C24
	s_mov_b64 exec, s[20:21]                                   // 00000000BB38: BEFE0114
	global_atomic_add_f32 v6, v132, s[8:9]                     // 00000000BB3C: DD348000 00088406
	s_mov_b64 exec, s[36:37]                                   // 00000000BB44: BEFE0124
	v_mov_b32_e32 v6, v71                                      // 00000000BB48: 7E0C0347
	s_mov_b64 s[60:61], 0                                      // 00000000BB4C: BEBC0180
	v_readlane_b32 s82, v3, 14                                 // 00000000BB50: D2890052 00011D03
	s_and_b32 s82, s82, 0xffffff                               // 00000000BB58: 8652FF52 00FFFFFF
	s_cmp_lt_u32 s82, s66                                      // 00000000BB60: BF0A4252
	s_cselect_b32 s20, s36, s60                                // 00000000BB64: 85143C24
	v_readlane_b32 s82, v3, 15                                 // 00000000BB68: D2890052 00011F03
	s_and_b32 s82, s82, 0xffffff                               // 00000000BB70: 8652FF52 00FFFFFF
	s_cmp_lt_u32 s82, s66                                      // 00000000BB78: BF0A4252
	s_cselect_b32 s21, s36, s60                                // 00000000BB7C: 85153C24
	s_mov_b64 exec, s[20:21]                                   // 00000000BB80: BEFE0114
	global_atomic_add_f32 v6, v133, s[8:9]                     // 00000000BB84: DD348000 00088506
	s_mov_b64 exec, s[36:37]                                   // 00000000BB8C: BEFE0124
	v_mov_b32_e32 v6, v72                                      // 00000000BB90: 7E0C0348
	s_mov_b64 s[60:61], 0                                      // 00000000BB94: BEBC0180
	v_readlane_b32 s82, v3, 16                                 // 00000000BB98: D2890052 00012103
	s_and_b32 s82, s82, 0xffffff                               // 00000000BBA0: 8652FF52 00FFFFFF
	s_cmp_lt_u32 s82, s66                                      // 00000000BBA8: BF0A4252
	s_cselect_b32 s20, s36, s60                                // 00000000BBAC: 85143C24
	v_readlane_b32 s82, v3, 17                                 // 00000000BBB0: D2890052 00012303
	s_and_b32 s82, s82, 0xffffff                               // 00000000BBB8: 8652FF52 00FFFFFF
	s_cmp_lt_u32 s82, s66                                      // 00000000BBC0: BF0A4252
	s_cselect_b32 s21, s36, s60                                // 00000000BBC4: 85153C24
	s_mov_b64 exec, s[20:21]                                   // 00000000BBC8: BEFE0114
	global_atomic_add_f32 v6, v136, s[8:9]                     // 00000000BBCC: DD348000 00088806
	s_mov_b64 exec, s[36:37]                                   // 00000000BBD4: BEFE0124
	v_mov_b32_e32 v6, v73                                      // 00000000BBD8: 7E0C0349
	s_mov_b64 s[60:61], 0                                      // 00000000BBDC: BEBC0180
	v_readlane_b32 s82, v3, 18                                 // 00000000BBE0: D2890052 00012503
	s_and_b32 s82, s82, 0xffffff                               // 00000000BBE8: 8652FF52 00FFFFFF
	s_cmp_lt_u32 s82, s66                                      // 00000000BBF0: BF0A4252
	s_cselect_b32 s20, s36, s60                                // 00000000BBF4: 85143C24
	v_readlane_b32 s82, v3, 19                                 // 00000000BBF8: D2890052 00012703
	s_and_b32 s82, s82, 0xffffff                               // 00000000BC00: 8652FF52 00FFFFFF
	s_cmp_lt_u32 s82, s66                                      // 00000000BC08: BF0A4252
	s_cselect_b32 s21, s36, s60                                // 00000000BC0C: 85153C24
	s_mov_b64 exec, s[20:21]                                   // 00000000BC10: BEFE0114
	global_atomic_add_f32 v6, v137, s[8:9]                     // 00000000BC14: DD348000 00088906
	s_mov_b64 exec, s[36:37]                                   // 00000000BC1C: BEFE0124
	v_mov_b32_e32 v6, v74                                      // 00000000BC20: 7E0C034A
	s_mov_b64 s[60:61], 0                                      // 00000000BC24: BEBC0180
	v_readlane_b32 s82, v3, 20                                 // 00000000BC28: D2890052 00012903
	s_and_b32 s82, s82, 0xffffff                               // 00000000BC30: 8652FF52 00FFFFFF
	s_cmp_lt_u32 s82, s66                                      // 00000000BC38: BF0A4252
	s_cselect_b32 s20, s36, s60                                // 00000000BC3C: 85143C24
	v_readlane_b32 s82, v3, 21                                 // 00000000BC40: D2890052 00012B03
	s_and_b32 s82, s82, 0xffffff                               // 00000000BC48: 8652FF52 00FFFFFF
	s_cmp_lt_u32 s82, s66                                      // 00000000BC50: BF0A4252
	s_cselect_b32 s21, s36, s60                                // 00000000BC54: 85153C24
	s_mov_b64 exec, s[20:21]                                   // 00000000BC58: BEFE0114
	global_atomic_add_f32 v6, v140, s[8:9]                     // 00000000BC5C: DD348000 00088C06
	s_mov_b64 exec, s[36:37]                                   // 00000000BC64: BEFE0124
	v_mov_b32_e32 v6, v75                                      // 00000000BC68: 7E0C034B
	s_mov_b64 s[60:61], 0                                      // 00000000BC6C: BEBC0180
	v_readlane_b32 s82, v3, 22                                 // 00000000BC70: D2890052 00012D03
	s_and_b32 s82, s82, 0xffffff                               // 00000000BC78: 8652FF52 00FFFFFF
	s_cmp_lt_u32 s82, s66                                      // 00000000BC80: BF0A4252
	s_cselect_b32 s20, s36, s60                                // 00000000BC84: 85143C24
	v_readlane_b32 s82, v3, 23                                 // 00000000BC88: D2890052 00012F03
	s_and_b32 s82, s82, 0xffffff                               // 00000000BC90: 8652FF52 00FFFFFF
	s_cmp_lt_u32 s82, s66                                      // 00000000BC98: BF0A4252
	s_cselect_b32 s21, s36, s60                                // 00000000BC9C: 85153C24
	s_mov_b64 exec, s[20:21]                                   // 00000000BCA0: BEFE0114
	global_atomic_add_f32 v6, v141, s[8:9]                     // 00000000BCA4: DD348000 00088D06
	s_mov_b64 exec, s[36:37]                                   // 00000000BCAC: BEFE0124
	v_mov_b32_e32 v6, v76                                      // 00000000BCB0: 7E0C034C
	s_mov_b64 s[60:61], 0                                      // 00000000BCB4: BEBC0180
	v_readlane_b32 s82, v3, 24                                 // 00000000BCB8: D2890052 00013103
	s_and_b32 s82, s82, 0xffffff                               // 00000000BCC0: 8652FF52 00FFFFFF
	s_cmp_lt_u32 s82, s66                                      // 00000000BCC8: BF0A4252
	s_cselect_b32 s20, s36, s60                                // 00000000BCCC: 85143C24
	v_readlane_b32 s82, v3, 25                                 // 00000000BCD0: D2890052 00013303
	s_and_b32 s82, s82, 0xffffff                               // 00000000BCD8: 8652FF52 00FFFFFF
	s_cmp_lt_u32 s82, s66                                      // 00000000BCE0: BF0A4252
	s_cselect_b32 s21, s36, s60                                // 00000000BCE4: 85153C24
	s_mov_b64 exec, s[20:21]                                   // 00000000BCE8: BEFE0114
	global_atomic_add_f32 v6, v144, s[8:9]                     // 00000000BCEC: DD348000 00089006
	s_mov_b64 exec, s[36:37]                                   // 00000000BCF4: BEFE0124
	v_mov_b32_e32 v6, v77                                      // 00000000BCF8: 7E0C034D
	s_mov_b64 s[60:61], 0                                      // 00000000BCFC: BEBC0180
	v_readlane_b32 s82, v3, 26                                 // 00000000BD00: D2890052 00013503
	s_and_b32 s82, s82, 0xffffff                               // 00000000BD08: 8652FF52 00FFFFFF
	s_cmp_lt_u32 s82, s66                                      // 00000000BD10: BF0A4252
	s_cselect_b32 s20, s36, s60                                // 00000000BD14: 85143C24
	v_readlane_b32 s82, v3, 27                                 // 00000000BD18: D2890052 00013703
	s_and_b32 s82, s82, 0xffffff                               // 00000000BD20: 8652FF52 00FFFFFF
	s_cmp_lt_u32 s82, s66                                      // 00000000BD28: BF0A4252
	s_cselect_b32 s21, s36, s60                                // 00000000BD2C: 85153C24
	s_mov_b64 exec, s[20:21]                                   // 00000000BD30: BEFE0114
	global_atomic_add_f32 v6, v145, s[8:9]                     // 00000000BD34: DD348000 00089106
	s_mov_b64 exec, s[36:37]                                   // 00000000BD3C: BEFE0124
	v_mov_b32_e32 v6, v78                                      // 00000000BD40: 7E0C034E
	s_mov_b64 s[60:61], 0                                      // 00000000BD44: BEBC0180
	v_readlane_b32 s82, v3, 28                                 // 00000000BD48: D2890052 00013903
	s_and_b32 s82, s82, 0xffffff                               // 00000000BD50: 8652FF52 00FFFFFF
	s_cmp_lt_u32 s82, s66                                      // 00000000BD58: BF0A4252
	s_cselect_b32 s20, s36, s60                                // 00000000BD5C: 85143C24
	v_readlane_b32 s82, v3, 29                                 // 00000000BD60: D2890052 00013B03
	s_and_b32 s82, s82, 0xffffff                               // 00000000BD68: 8652FF52 00FFFFFF
	s_cmp_lt_u32 s82, s66                                      // 00000000BD70: BF0A4252
	s_cselect_b32 s21, s36, s60                                // 00000000BD74: 85153C24
	s_mov_b64 exec, s[20:21]                                   // 00000000BD78: BEFE0114
	global_atomic_add_f32 v6, v148, s[8:9]                     // 00000000BD7C: DD348000 00089406
	s_mov_b64 exec, s[36:37]                                   // 00000000BD84: BEFE0124
	v_mov_b32_e32 v6, v79                                      // 00000000BD88: 7E0C034F
	s_mov_b64 s[60:61], 0                                      // 00000000BD8C: BEBC0180
	v_readlane_b32 s82, v3, 30                                 // 00000000BD90: D2890052 00013D03
	s_and_b32 s82, s82, 0xffffff                               // 00000000BD98: 8652FF52 00FFFFFF
	s_cmp_lt_u32 s82, s66                                      // 00000000BDA0: BF0A4252
	s_cselect_b32 s20, s36, s60                                // 00000000BDA4: 85143C24
	v_readlane_b32 s82, v3, 31                                 // 00000000BDA8: D2890052 00013F03
	s_and_b32 s82, s82, 0xffffff                               // 00000000BDB0: 8652FF52 00FFFFFF
	s_cmp_lt_u32 s82, s66                                      // 00000000BDB8: BF0A4252
	s_cselect_b32 s21, s36, s60                                // 00000000BDBC: 85153C24
	s_mov_b64 exec, s[20:21]                                   // 00000000BDC0: BEFE0114
	global_atomic_add_f32 v6, v149, s[8:9]                     // 00000000BDC4: DD348000 00089506
	s_mov_b64 exec, s[36:37]                                   // 00000000BDCC: BEFE0124
	v_mov_b32_e32 v6, v80                                      // 00000000BDD0: 7E0C0350
	s_mov_b64 s[60:61], 0                                      // 00000000BDD4: BEBC0180
	v_readlane_b32 s82, v3, 32                                 // 00000000BDD8: D2890052 00014103
	s_and_b32 s82, s82, 0xffffff                               // 00000000BDE0: 8652FF52 00FFFFFF
	s_cmp_lt_u32 s82, s66                                      // 00000000BDE8: BF0A4252
	s_cselect_b32 s20, s36, s60                                // 00000000BDEC: 85143C24
	v_readlane_b32 s82, v3, 33                                 // 00000000BDF0: D2890052 00014303
	s_and_b32 s82, s82, 0xffffff                               // 00000000BDF8: 8652FF52 00FFFFFF
	s_cmp_lt_u32 s82, s66                                      // 00000000BE00: BF0A4252
	s_cselect_b32 s21, s36, s60                                // 00000000BE04: 85153C24
	s_mov_b64 exec, s[20:21]                                   // 00000000BE08: BEFE0114
	global_atomic_add_f32 v6, v152, s[8:9]                     // 00000000BE0C: DD348000 00089806
	s_mov_b64 exec, s[36:37]                                   // 00000000BE14: BEFE0124
	v_mov_b32_e32 v6, v81                                      // 00000000BE18: 7E0C0351
	s_mov_b64 s[60:61], 0                                      // 00000000BE1C: BEBC0180
	v_readlane_b32 s82, v3, 34                                 // 00000000BE20: D2890052 00014503
	s_and_b32 s82, s82, 0xffffff                               // 00000000BE28: 8652FF52 00FFFFFF
	s_cmp_lt_u32 s82, s66                                      // 00000000BE30: BF0A4252
	s_cselect_b32 s20, s36, s60                                // 00000000BE34: 85143C24
	v_readlane_b32 s82, v3, 35                                 // 00000000BE38: D2890052 00014703
	s_and_b32 s82, s82, 0xffffff                               // 00000000BE40: 8652FF52 00FFFFFF
	s_cmp_lt_u32 s82, s66                                      // 00000000BE48: BF0A4252
	s_cselect_b32 s21, s36, s60                                // 00000000BE4C: 85153C24
	s_mov_b64 exec, s[20:21]                                   // 00000000BE50: BEFE0114
	global_atomic_add_f32 v6, v153, s[8:9]                     // 00000000BE54: DD348000 00089906
	s_mov_b64 exec, s[36:37]                                   // 00000000BE5C: BEFE0124
	ds_write_b64 v20, v[122:123]                               // 00000000BE60: D89A0000 00007A14
	ds_write_b64 v20, v[126:127] offset:2176                   // 00000000BE68: D89A0880 00007E14
	ds_write_b64 v20, v[130:131] offset:4352                   // 00000000BE70: D89A1100 00008214
	ds_write_b64 v20, v[134:135] offset:6528                   // 00000000BE78: D89A1980 00008614
	ds_write_b64 v20, v[138:139] offset:8704                   // 00000000BE80: D89A2200 00008A14
	ds_write_b64 v20, v[142:143] offset:10880                  // 00000000BE88: D89A2A80 00008E14
	ds_write_b64 v20, v[146:147] offset:13056                  // 00000000BE90: D89A3300 00009214
	ds_write_b64 v20, v[150:151] offset:15232                  // 00000000BE98: D89A3B80 00009614
	ds_write_b64 v20, v[154:155] offset:17408                  // 00000000BEA0: D89A4400 00009A14
	s_waitcnt lgkmcnt(0)                                       // 00000000BEA8: BF8CC07F
	s_barrier                                                  // 00000000BEAC: BF8A0000
	ds_read_b32 v122, v21                                      // 00000000BEB0: D86C0000 7A000015
	ds_read_b32 v123, v21 offset:64                            // 00000000BEB8: D86C0040 7B000015
	ds_read_b32 v126, v21 offset:2176                          // 00000000BEC0: D86C0880 7E000015
	ds_read_b32 v127, v21 offset:2240                          // 00000000BEC8: D86C08C0 7F000015
	ds_read_b32 v130, v21 offset:4352                          // 00000000BED0: D86C1100 82000015
	ds_read_b32 v131, v21 offset:4416                          // 00000000BED8: D86C1140 83000015
	ds_read_b32 v134, v21 offset:6528                          // 00000000BEE0: D86C1980 86000015
	ds_read_b32 v135, v21 offset:6592                          // 00000000BEE8: D86C19C0 87000015
	ds_read_b32 v138, v21 offset:8704                          // 00000000BEF0: D86C2200 8A000015
	ds_read_b32 v139, v21 offset:8768                          // 00000000BEF8: D86C2240 8B000015
	ds_read_b32 v142, v21 offset:10880                         // 00000000BF00: D86C2A80 8E000015
	ds_read_b32 v143, v21 offset:10944                         // 00000000BF08: D86C2AC0 8F000015
	ds_read_b32 v146, v21 offset:13056                         // 00000000BF10: D86C3300 92000015
	ds_read_b32 v147, v21 offset:13120                         // 00000000BF18: D86C3340 93000015
	ds_read_b32 v150, v21 offset:15232                         // 00000000BF20: D86C3B80 96000015
	ds_read_b32 v151, v21 offset:15296                         // 00000000BF28: D86C3BC0 97000015
	ds_read_b32 v154, v21 offset:17408                         // 00000000BF30: D86C4400 9A000015
	ds_read_b32 v155, v21 offset:17472                         // 00000000BF38: D86C4440 9B000015
	s_waitcnt lgkmcnt(0)                                       // 00000000BF40: BF8CC07F
	v_mov_b32_e32 v7, 0                                        // 00000000BF44: 7E0E0280
	s_mov_b64 exec, s[36:37]                                   // 00000000BF48: BEFE0124
	v_mov_b32_e32 v6, v64                                      // 00000000BF4C: 7E0C0340
	s_mov_b64 s[60:61], 0                                      // 00000000BF50: BEBC0180
	v_readlane_b32 s82, v3, 0                                  // 00000000BF54: D2890052 00010103
	s_and_b32 s82, s82, 0xffffff                               // 00000000BF5C: 8652FF52 00FFFFFF
	s_cmp_lt_u32 s82, s66                                      // 00000000BF64: BF0A4252
	s_cselect_b32 s20, s36, s60                                // 00000000BF68: 85143C24
	v_readlane_b32 s82, v3, 1                                  // 00000000BF6C: D2890052 00010303
	s_and_b32 s82, s82, 0xffffff                               // 00000000BF74: 8652FF52 00FFFFFF
	s_cmp_lt_u32 s82, s66                                      // 00000000BF7C: BF0A4252
	s_cselect_b32 s21, s36, s60                                // 00000000BF80: 85153C24
	s_mov_b64 exec, s[20:21]                                   // 00000000BF84: BEFE0114
	global_atomic_add_f32 v6, v122, s[8:9] offset:8            // 00000000BF88: DD348008 00087A06
	s_mov_b64 exec, s[36:37]                                   // 00000000BF90: BEFE0124
	v_mov_b32_e32 v6, v65                                      // 00000000BF94: 7E0C0341
	s_mov_b64 s[60:61], 0                                      // 00000000BF98: BEBC0180
	v_readlane_b32 s82, v3, 2                                  // 00000000BF9C: D2890052 00010503
	s_and_b32 s82, s82, 0xffffff                               // 00000000BFA4: 8652FF52 00FFFFFF
	s_cmp_lt_u32 s82, s66                                      // 00000000BFAC: BF0A4252
	s_cselect_b32 s20, s36, s60                                // 00000000BFB0: 85143C24
	v_readlane_b32 s82, v3, 3                                  // 00000000BFB4: D2890052 00010703
	s_and_b32 s82, s82, 0xffffff                               // 00000000BFBC: 8652FF52 00FFFFFF
	s_cmp_lt_u32 s82, s66                                      // 00000000BFC4: BF0A4252
	s_cselect_b32 s21, s36, s60                                // 00000000BFC8: 85153C24
	s_mov_b64 exec, s[20:21]                                   // 00000000BFCC: BEFE0114
	global_atomic_add_f32 v6, v123, s[8:9] offset:8            // 00000000BFD0: DD348008 00087B06
	s_mov_b64 exec, s[36:37]                                   // 00000000BFD8: BEFE0124
	v_mov_b32_e32 v6, v66                                      // 00000000BFDC: 7E0C0342
	s_mov_b64 s[60:61], 0                                      // 00000000BFE0: BEBC0180
	v_readlane_b32 s82, v3, 4                                  // 00000000BFE4: D2890052 00010903
	s_and_b32 s82, s82, 0xffffff                               // 00000000BFEC: 8652FF52 00FFFFFF
	s_cmp_lt_u32 s82, s66                                      // 00000000BFF4: BF0A4252
	s_cselect_b32 s20, s36, s60                                // 00000000BFF8: 85143C24
	v_readlane_b32 s82, v3, 5                                  // 00000000BFFC: D2890052 00010B03
	s_and_b32 s82, s82, 0xffffff                               // 00000000C004: 8652FF52 00FFFFFF
	s_cmp_lt_u32 s82, s66                                      // 00000000C00C: BF0A4252
	s_cselect_b32 s21, s36, s60                                // 00000000C010: 85153C24
	s_mov_b64 exec, s[20:21]                                   // 00000000C014: BEFE0114
	global_atomic_add_f32 v6, v126, s[8:9] offset:8            // 00000000C018: DD348008 00087E06
	s_mov_b64 exec, s[36:37]                                   // 00000000C020: BEFE0124
	v_mov_b32_e32 v6, v67                                      // 00000000C024: 7E0C0343
	s_mov_b64 s[60:61], 0                                      // 00000000C028: BEBC0180
	v_readlane_b32 s82, v3, 6                                  // 00000000C02C: D2890052 00010D03
	s_and_b32 s82, s82, 0xffffff                               // 00000000C034: 8652FF52 00FFFFFF
	s_cmp_lt_u32 s82, s66                                      // 00000000C03C: BF0A4252
	s_cselect_b32 s20, s36, s60                                // 00000000C040: 85143C24
	v_readlane_b32 s82, v3, 7                                  // 00000000C044: D2890052 00010F03
	s_and_b32 s82, s82, 0xffffff                               // 00000000C04C: 8652FF52 00FFFFFF
	s_cmp_lt_u32 s82, s66                                      // 00000000C054: BF0A4252
	s_cselect_b32 s21, s36, s60                                // 00000000C058: 85153C24
	s_mov_b64 exec, s[20:21]                                   // 00000000C05C: BEFE0114
	global_atomic_add_f32 v6, v127, s[8:9] offset:8            // 00000000C060: DD348008 00087F06
	s_mov_b64 exec, s[36:37]                                   // 00000000C068: BEFE0124
	v_mov_b32_e32 v6, v68                                      // 00000000C06C: 7E0C0344
	s_mov_b64 s[60:61], 0                                      // 00000000C070: BEBC0180
	v_readlane_b32 s82, v3, 8                                  // 00000000C074: D2890052 00011103
	s_and_b32 s82, s82, 0xffffff                               // 00000000C07C: 8652FF52 00FFFFFF
	s_cmp_lt_u32 s82, s66                                      // 00000000C084: BF0A4252
	s_cselect_b32 s20, s36, s60                                // 00000000C088: 85143C24
	v_readlane_b32 s82, v3, 9                                  // 00000000C08C: D2890052 00011303
	s_and_b32 s82, s82, 0xffffff                               // 00000000C094: 8652FF52 00FFFFFF
	s_cmp_lt_u32 s82, s66                                      // 00000000C09C: BF0A4252
	s_cselect_b32 s21, s36, s60                                // 00000000C0A0: 85153C24
	s_mov_b64 exec, s[20:21]                                   // 00000000C0A4: BEFE0114
	global_atomic_add_f32 v6, v130, s[8:9] offset:8            // 00000000C0A8: DD348008 00088206
	s_mov_b64 exec, s[36:37]                                   // 00000000C0B0: BEFE0124
	v_mov_b32_e32 v6, v69                                      // 00000000C0B4: 7E0C0345
	s_mov_b64 s[60:61], 0                                      // 00000000C0B8: BEBC0180
	v_readlane_b32 s82, v3, 10                                 // 00000000C0BC: D2890052 00011503
	s_and_b32 s82, s82, 0xffffff                               // 00000000C0C4: 8652FF52 00FFFFFF
	s_cmp_lt_u32 s82, s66                                      // 00000000C0CC: BF0A4252
	s_cselect_b32 s20, s36, s60                                // 00000000C0D0: 85143C24
	v_readlane_b32 s82, v3, 11                                 // 00000000C0D4: D2890052 00011703
	s_and_b32 s82, s82, 0xffffff                               // 00000000C0DC: 8652FF52 00FFFFFF
	s_cmp_lt_u32 s82, s66                                      // 00000000C0E4: BF0A4252
	s_cselect_b32 s21, s36, s60                                // 00000000C0E8: 85153C24
	s_mov_b64 exec, s[20:21]                                   // 00000000C0EC: BEFE0114
	global_atomic_add_f32 v6, v131, s[8:9] offset:8            // 00000000C0F0: DD348008 00088306
	s_mov_b64 exec, s[36:37]                                   // 00000000C0F8: BEFE0124
	v_mov_b32_e32 v6, v70                                      // 00000000C0FC: 7E0C0346
	s_mov_b64 s[60:61], 0                                      // 00000000C100: BEBC0180
	v_readlane_b32 s82, v3, 12                                 // 00000000C104: D2890052 00011903
	s_and_b32 s82, s82, 0xffffff                               // 00000000C10C: 8652FF52 00FFFFFF
	s_cmp_lt_u32 s82, s66                                      // 00000000C114: BF0A4252
	s_cselect_b32 s20, s36, s60                                // 00000000C118: 85143C24
	v_readlane_b32 s82, v3, 13                                 // 00000000C11C: D2890052 00011B03
	s_and_b32 s82, s82, 0xffffff                               // 00000000C124: 8652FF52 00FFFFFF
	s_cmp_lt_u32 s82, s66                                      // 00000000C12C: BF0A4252
	s_cselect_b32 s21, s36, s60                                // 00000000C130: 85153C24
	s_mov_b64 exec, s[20:21]                                   // 00000000C134: BEFE0114
	global_atomic_add_f32 v6, v134, s[8:9] offset:8            // 00000000C138: DD348008 00088606
	s_mov_b64 exec, s[36:37]                                   // 00000000C140: BEFE0124
	v_mov_b32_e32 v6, v71                                      // 00000000C144: 7E0C0347
	s_mov_b64 s[60:61], 0                                      // 00000000C148: BEBC0180
	v_readlane_b32 s82, v3, 14                                 // 00000000C14C: D2890052 00011D03
	s_and_b32 s82, s82, 0xffffff                               // 00000000C154: 8652FF52 00FFFFFF
	s_cmp_lt_u32 s82, s66                                      // 00000000C15C: BF0A4252
	s_cselect_b32 s20, s36, s60                                // 00000000C160: 85143C24
	v_readlane_b32 s82, v3, 15                                 // 00000000C164: D2890052 00011F03
	s_and_b32 s82, s82, 0xffffff                               // 00000000C16C: 8652FF52 00FFFFFF
	s_cmp_lt_u32 s82, s66                                      // 00000000C174: BF0A4252
	s_cselect_b32 s21, s36, s60                                // 00000000C178: 85153C24
	s_mov_b64 exec, s[20:21]                                   // 00000000C17C: BEFE0114
	global_atomic_add_f32 v6, v135, s[8:9] offset:8            // 00000000C180: DD348008 00088706
	s_mov_b64 exec, s[36:37]                                   // 00000000C188: BEFE0124
	v_mov_b32_e32 v6, v72                                      // 00000000C18C: 7E0C0348
	s_mov_b64 s[60:61], 0                                      // 00000000C190: BEBC0180
	v_readlane_b32 s82, v3, 16                                 // 00000000C194: D2890052 00012103
	s_and_b32 s82, s82, 0xffffff                               // 00000000C19C: 8652FF52 00FFFFFF
	s_cmp_lt_u32 s82, s66                                      // 00000000C1A4: BF0A4252
	s_cselect_b32 s20, s36, s60                                // 00000000C1A8: 85143C24
	v_readlane_b32 s82, v3, 17                                 // 00000000C1AC: D2890052 00012303
	s_and_b32 s82, s82, 0xffffff                               // 00000000C1B4: 8652FF52 00FFFFFF
	s_cmp_lt_u32 s82, s66                                      // 00000000C1BC: BF0A4252
	s_cselect_b32 s21, s36, s60                                // 00000000C1C0: 85153C24
	s_mov_b64 exec, s[20:21]                                   // 00000000C1C4: BEFE0114
	global_atomic_add_f32 v6, v138, s[8:9] offset:8            // 00000000C1C8: DD348008 00088A06
	s_mov_b64 exec, s[36:37]                                   // 00000000C1D0: BEFE0124
	v_mov_b32_e32 v6, v73                                      // 00000000C1D4: 7E0C0349
	s_mov_b64 s[60:61], 0                                      // 00000000C1D8: BEBC0180
	v_readlane_b32 s82, v3, 18                                 // 00000000C1DC: D2890052 00012503
	s_and_b32 s82, s82, 0xffffff                               // 00000000C1E4: 8652FF52 00FFFFFF
	s_cmp_lt_u32 s82, s66                                      // 00000000C1EC: BF0A4252
	s_cselect_b32 s20, s36, s60                                // 00000000C1F0: 85143C24
	v_readlane_b32 s82, v3, 19                                 // 00000000C1F4: D2890052 00012703
	s_and_b32 s82, s82, 0xffffff                               // 00000000C1FC: 8652FF52 00FFFFFF
	s_cmp_lt_u32 s82, s66                                      // 00000000C204: BF0A4252
	s_cselect_b32 s21, s36, s60                                // 00000000C208: 85153C24
	s_mov_b64 exec, s[20:21]                                   // 00000000C20C: BEFE0114
	global_atomic_add_f32 v6, v139, s[8:9] offset:8            // 00000000C210: DD348008 00088B06
	s_mov_b64 exec, s[36:37]                                   // 00000000C218: BEFE0124
	v_mov_b32_e32 v6, v74                                      // 00000000C21C: 7E0C034A
	s_mov_b64 s[60:61], 0                                      // 00000000C220: BEBC0180
	v_readlane_b32 s82, v3, 20                                 // 00000000C224: D2890052 00012903
	s_and_b32 s82, s82, 0xffffff                               // 00000000C22C: 8652FF52 00FFFFFF
	s_cmp_lt_u32 s82, s66                                      // 00000000C234: BF0A4252
	s_cselect_b32 s20, s36, s60                                // 00000000C238: 85143C24
	v_readlane_b32 s82, v3, 21                                 // 00000000C23C: D2890052 00012B03
	s_and_b32 s82, s82, 0xffffff                               // 00000000C244: 8652FF52 00FFFFFF
	s_cmp_lt_u32 s82, s66                                      // 00000000C24C: BF0A4252
	s_cselect_b32 s21, s36, s60                                // 00000000C250: 85153C24
	s_mov_b64 exec, s[20:21]                                   // 00000000C254: BEFE0114
	global_atomic_add_f32 v6, v142, s[8:9] offset:8            // 00000000C258: DD348008 00088E06
	s_mov_b64 exec, s[36:37]                                   // 00000000C260: BEFE0124
	v_mov_b32_e32 v6, v75                                      // 00000000C264: 7E0C034B
	s_mov_b64 s[60:61], 0                                      // 00000000C268: BEBC0180
	v_readlane_b32 s82, v3, 22                                 // 00000000C26C: D2890052 00012D03
	s_and_b32 s82, s82, 0xffffff                               // 00000000C274: 8652FF52 00FFFFFF
	s_cmp_lt_u32 s82, s66                                      // 00000000C27C: BF0A4252
	s_cselect_b32 s20, s36, s60                                // 00000000C280: 85143C24
	v_readlane_b32 s82, v3, 23                                 // 00000000C284: D2890052 00012F03
	s_and_b32 s82, s82, 0xffffff                               // 00000000C28C: 8652FF52 00FFFFFF
	s_cmp_lt_u32 s82, s66                                      // 00000000C294: BF0A4252
	s_cselect_b32 s21, s36, s60                                // 00000000C298: 85153C24
	s_mov_b64 exec, s[20:21]                                   // 00000000C29C: BEFE0114
	global_atomic_add_f32 v6, v143, s[8:9] offset:8            // 00000000C2A0: DD348008 00088F06
	s_mov_b64 exec, s[36:37]                                   // 00000000C2A8: BEFE0124
	v_mov_b32_e32 v6, v76                                      // 00000000C2AC: 7E0C034C
	s_mov_b64 s[60:61], 0                                      // 00000000C2B0: BEBC0180
	v_readlane_b32 s82, v3, 24                                 // 00000000C2B4: D2890052 00013103
	s_and_b32 s82, s82, 0xffffff                               // 00000000C2BC: 8652FF52 00FFFFFF
	s_cmp_lt_u32 s82, s66                                      // 00000000C2C4: BF0A4252
	s_cselect_b32 s20, s36, s60                                // 00000000C2C8: 85143C24
	v_readlane_b32 s82, v3, 25                                 // 00000000C2CC: D2890052 00013303
	s_and_b32 s82, s82, 0xffffff                               // 00000000C2D4: 8652FF52 00FFFFFF
	s_cmp_lt_u32 s82, s66                                      // 00000000C2DC: BF0A4252
	s_cselect_b32 s21, s36, s60                                // 00000000C2E0: 85153C24
	s_mov_b64 exec, s[20:21]                                   // 00000000C2E4: BEFE0114
	global_atomic_add_f32 v6, v146, s[8:9] offset:8            // 00000000C2E8: DD348008 00089206
	s_mov_b64 exec, s[36:37]                                   // 00000000C2F0: BEFE0124
	v_mov_b32_e32 v6, v77                                      // 00000000C2F4: 7E0C034D
	s_mov_b64 s[60:61], 0                                      // 00000000C2F8: BEBC0180
	v_readlane_b32 s82, v3, 26                                 // 00000000C2FC: D2890052 00013503
	s_and_b32 s82, s82, 0xffffff                               // 00000000C304: 8652FF52 00FFFFFF
	s_cmp_lt_u32 s82, s66                                      // 00000000C30C: BF0A4252
	s_cselect_b32 s20, s36, s60                                // 00000000C310: 85143C24
	v_readlane_b32 s82, v3, 27                                 // 00000000C314: D2890052 00013703
	s_and_b32 s82, s82, 0xffffff                               // 00000000C31C: 8652FF52 00FFFFFF
	s_cmp_lt_u32 s82, s66                                      // 00000000C324: BF0A4252
	s_cselect_b32 s21, s36, s60                                // 00000000C328: 85153C24
	s_mov_b64 exec, s[20:21]                                   // 00000000C32C: BEFE0114
	global_atomic_add_f32 v6, v147, s[8:9] offset:8            // 00000000C330: DD348008 00089306
	s_mov_b64 exec, s[36:37]                                   // 00000000C338: BEFE0124
	v_mov_b32_e32 v6, v78                                      // 00000000C33C: 7E0C034E
	s_mov_b64 s[60:61], 0                                      // 00000000C340: BEBC0180
	v_readlane_b32 s82, v3, 28                                 // 00000000C344: D2890052 00013903
	s_and_b32 s82, s82, 0xffffff                               // 00000000C34C: 8652FF52 00FFFFFF
	s_cmp_lt_u32 s82, s66                                      // 00000000C354: BF0A4252
	s_cselect_b32 s20, s36, s60                                // 00000000C358: 85143C24
	v_readlane_b32 s82, v3, 29                                 // 00000000C35C: D2890052 00013B03
	s_and_b32 s82, s82, 0xffffff                               // 00000000C364: 8652FF52 00FFFFFF
	s_cmp_lt_u32 s82, s66                                      // 00000000C36C: BF0A4252
	s_cselect_b32 s21, s36, s60                                // 00000000C370: 85153C24
	s_mov_b64 exec, s[20:21]                                   // 00000000C374: BEFE0114
	global_atomic_add_f32 v6, v150, s[8:9] offset:8            // 00000000C378: DD348008 00089606
	s_mov_b64 exec, s[36:37]                                   // 00000000C380: BEFE0124
	v_mov_b32_e32 v6, v79                                      // 00000000C384: 7E0C034F
	s_mov_b64 s[60:61], 0                                      // 00000000C388: BEBC0180
	v_readlane_b32 s82, v3, 30                                 // 00000000C38C: D2890052 00013D03
	s_and_b32 s82, s82, 0xffffff                               // 00000000C394: 8652FF52 00FFFFFF
	s_cmp_lt_u32 s82, s66                                      // 00000000C39C: BF0A4252
	s_cselect_b32 s20, s36, s60                                // 00000000C3A0: 85143C24
	v_readlane_b32 s82, v3, 31                                 // 00000000C3A4: D2890052 00013F03
	s_and_b32 s82, s82, 0xffffff                               // 00000000C3AC: 8652FF52 00FFFFFF
	s_cmp_lt_u32 s82, s66                                      // 00000000C3B4: BF0A4252
	s_cselect_b32 s21, s36, s60                                // 00000000C3B8: 85153C24
	s_mov_b64 exec, s[20:21]                                   // 00000000C3BC: BEFE0114
	global_atomic_add_f32 v6, v151, s[8:9] offset:8            // 00000000C3C0: DD348008 00089706
	s_mov_b64 exec, s[36:37]                                   // 00000000C3C8: BEFE0124
	v_mov_b32_e32 v6, v80                                      // 00000000C3CC: 7E0C0350
	s_mov_b64 s[60:61], 0                                      // 00000000C3D0: BEBC0180
	v_readlane_b32 s82, v3, 32                                 // 00000000C3D4: D2890052 00014103
	s_and_b32 s82, s82, 0xffffff                               // 00000000C3DC: 8652FF52 00FFFFFF
	s_cmp_lt_u32 s82, s66                                      // 00000000C3E4: BF0A4252
	s_cselect_b32 s20, s36, s60                                // 00000000C3E8: 85143C24
	v_readlane_b32 s82, v3, 33                                 // 00000000C3EC: D2890052 00014303
	s_and_b32 s82, s82, 0xffffff                               // 00000000C3F4: 8652FF52 00FFFFFF
	s_cmp_lt_u32 s82, s66                                      // 00000000C3FC: BF0A4252
	s_cselect_b32 s21, s36, s60                                // 00000000C400: 85153C24
	s_mov_b64 exec, s[20:21]                                   // 00000000C404: BEFE0114
	global_atomic_add_f32 v6, v154, s[8:9] offset:8            // 00000000C408: DD348008 00089A06
	s_mov_b64 exec, s[36:37]                                   // 00000000C410: BEFE0124
	v_mov_b32_e32 v6, v81                                      // 00000000C414: 7E0C0351
	s_mov_b64 s[60:61], 0                                      // 00000000C418: BEBC0180
	v_readlane_b32 s82, v3, 34                                 // 00000000C41C: D2890052 00014503
	s_and_b32 s82, s82, 0xffffff                               // 00000000C424: 8652FF52 00FFFFFF
	s_cmp_lt_u32 s82, s66                                      // 00000000C42C: BF0A4252
	s_cselect_b32 s20, s36, s60                                // 00000000C430: 85143C24
	v_readlane_b32 s82, v3, 35                                 // 00000000C434: D2890052 00014703
	s_and_b32 s82, s82, 0xffffff                               // 00000000C43C: 8652FF52 00FFFFFF
	s_cmp_lt_u32 s82, s66                                      // 00000000C444: BF0A4252
	s_cselect_b32 s21, s36, s60                                // 00000000C448: 85153C24
	s_mov_b64 exec, s[20:21]                                   // 00000000C44C: BEFE0114
	global_atomic_add_f32 v6, v155, s[8:9] offset:8            // 00000000C450: DD348008 00089B06
	s_mov_b64 exec, s[36:37]                                   // 00000000C458: BEFE0124
	s_branch label_269B                                        // 00000000C45C: BF820000

000000000000c460 <label_269B>:
	s_waitcnt vmcnt(0) expcnt(0) lgkmcnt(0)                    // 00000000C460: BF8C0000
	s_endpgm                                                   // 00000000C464: BF810000
